;; amdgpu-corpus repo=ggml-org/llama.cpp kind=compiled arch=gfx1030 opt=O3
	.amdgcn_target "amdgcn-amd-amdhsa--gfx1030"
	.amdhsa_code_object_version 6
	.section	.text._ZL18flash_attn_ext_vecILi64ELi1EL9ggml_type2ELS0_8ELb0EEvPKcS2_S2_S2_S2_PKiPfP15HIP_vector_typeIfLj2EEffffjfiS6_IjLj3EEiiiiiiiiiiiliiliiiiil,"axG",@progbits,_ZL18flash_attn_ext_vecILi64ELi1EL9ggml_type2ELS0_8ELb0EEvPKcS2_S2_S2_S2_PKiPfP15HIP_vector_typeIfLj2EEffffjfiS6_IjLj3EEiiiiiiiiiiiliiliiiiil,comdat
	.globl	_ZL18flash_attn_ext_vecILi64ELi1EL9ggml_type2ELS0_8ELb0EEvPKcS2_S2_S2_S2_PKiPfP15HIP_vector_typeIfLj2EEffffjfiS6_IjLj3EEiiiiiiiiiiiliiliiiiil ; -- Begin function _ZL18flash_attn_ext_vecILi64ELi1EL9ggml_type2ELS0_8ELb0EEvPKcS2_S2_S2_S2_PKiPfP15HIP_vector_typeIfLj2EEffffjfiS6_IjLj3EEiiiiiiiiiiiliiliiiiil
	.p2align	8
	.type	_ZL18flash_attn_ext_vecILi64ELi1EL9ggml_type2ELS0_8ELb0EEvPKcS2_S2_S2_S2_PKiPfP15HIP_vector_typeIfLj2EEffffjfiS6_IjLj3EEiiiiiiiiiiiliiliiiiil,@function
_ZL18flash_attn_ext_vecILi64ELi1EL9ggml_type2ELS0_8ELb0EEvPKcS2_S2_S2_S2_PKiPfP15HIP_vector_typeIfLj2EEffffjfiS6_IjLj3EEiiiiiiiiiiiliiliiiiil: ; @_ZL18flash_attn_ext_vecILi64ELi1EL9ggml_type2ELS0_8ELb0EEvPKcS2_S2_S2_S2_PKiPfP15HIP_vector_typeIfLj2EEffffjfiS6_IjLj3EEiiiiiiiiiiiliiliiiiil
; %bb.0:
	s_clause 0x3
	s_load_dwordx2 s[28:29], s[4:5], 0x64
	s_load_dwordx2 s[34:35], s[4:5], 0x80
	;; [unrolled: 1-line block ×3, first 2 shown]
	s_load_dwordx4 s[24:27], s[4:5], 0x40
	v_mov_b32_e32 v16, 1.0
	s_waitcnt lgkmcnt(0)
	v_cvt_f32_u32_e32 v2, s29
	s_sub_i32 s1, 0, s29
	v_rcp_iflag_f32_e32 v2, v2
	v_mul_f32_e32 v2, 0x4f7ffffe, v2
	v_cvt_u32_f32_e32 v2, v2
	v_readfirstlane_b32 s0, v2
	s_mul_i32 s1, s1, s0
	s_mul_hi_u32 s1, s0, s1
	s_add_i32 s0, s0, s1
	s_mul_hi_u32 s0, s8, s0
	s_mul_i32 s1, s0, s29
	s_add_i32 s2, s0, 1
	s_sub_i32 s1, s8, s1
	s_sub_i32 s3, s1, s29
	s_cmp_ge_u32 s1, s29
	s_cselect_b32 s0, s2, s0
	s_cselect_b32 s1, s3, s1
	s_add_i32 s2, s0, 1
	s_cmp_ge_u32 s1, s29
	s_cselect_b32 s33, s2, s0
	s_abs_i32 s0, s35
	s_abs_i32 s9, s29
	v_cvt_f32_u32_e32 v2, s0
	s_sub_i32 s2, 0, s0
	s_xor_b32 s3, s29, s35
	s_ashr_i32 s3, s3, 31
	v_rcp_iflag_f32_e32 v2, v2
	v_mul_f32_e32 v2, 0x4f7ffffe, v2
	v_cvt_u32_f32_e32 v2, v2
	v_readfirstlane_b32 s1, v2
	s_mul_i32 s2, s2, s1
	s_mul_hi_u32 s2, s1, s2
	s_add_i32 s1, s1, s2
	s_mul_i32 s2, s33, s29
	s_mul_hi_u32 s1, s9, s1
	s_sub_i32 s30, s8, s2
	s_mul_i32 s10, s1, s0
	s_add_i32 s8, s1, 1
	s_sub_i32 s2, s9, s10
	s_sub_i32 s9, s2, s0
	s_cmp_ge_u32 s2, s0
	s_cselect_b32 s1, s8, s1
	s_cselect_b32 s2, s9, s2
	s_add_i32 s8, s1, 1
	s_cmp_ge_u32 s2, s0
	s_cselect_b32 s0, s8, s1
	s_abs_i32 s35, s36
	s_xor_b32 s0, s0, s3
	v_cvt_f32_u32_e32 v2, s35
	s_sub_i32 s40, s0, s3
	s_load_dword s0, s[4:5], 0x50
	s_abs_i32 s38, s40
	v_cmp_le_f32_e64 s1, s25, 0
	v_cvt_f32_u32_e32 v3, s38
	v_rcp_iflag_f32_e32 v2, v2
	s_sub_i32 s2, 0, s38
	s_abs_i32 s36, s30
	s_and_b32 vcc_lo, exec_lo, s1
	v_rcp_iflag_f32_e32 v3, v3
	s_sub_i32 s1, 0, s35
	s_abs_i32 s39, s33
	v_mul_f32_e32 v2, 0x4f7ffffe, v2
	v_mul_f32_e32 v3, 0x4f7ffffe, v3
	v_cvt_u32_f32_e32 v2, v2
	v_cvt_u32_f32_e32 v3, v3
	v_readfirstlane_b32 s3, v2
	v_readfirstlane_b32 s25, v3
	s_mul_i32 s1, s1, s3
	s_mul_hi_u32 s1, s3, s1
	s_mul_i32 s2, s2, s25
	s_add_i32 s3, s3, s1
	s_mul_hi_u32 s2, s25, s2
	s_add_i32 s25, s25, s2
	s_cbranch_vccnz .LBB0_2
; %bb.1:
	s_waitcnt lgkmcnt(0)
	v_sub_co_u32 v3, vcc_lo, s30, s0
	v_mov_b32_e32 v2, s26
	s_add_i32 s0, s30, 1
	v_lshlrev_b32_e32 v3, 1, v3
	v_cndmask_b32_e32 v2, s27, v2, vcc_lo
	v_or_b32_e32 v3, 1, v3
	v_cndmask_b32_e64 v3, v3, s0, vcc_lo
	v_cmp_neq_f32_e32 vcc_lo, 1.0, v2
	s_mov_b32 s0, 0x3e76c4e1
	v_cvt_f32_i32_e32 v3, v3
	v_cndmask_b32_e32 v4, 1.0, v3, vcc_lo
	v_cmp_neq_f32_e32 vcc_lo, 0, v4
	v_cndmask_b32_e32 v5, 1.0, v2, vcc_lo
	v_frexp_mant_f32_e64 v2, |v5|
	v_cmp_eq_f32_e64 s2, 0, v5
	v_cmp_gt_f32_e32 vcc_lo, 0x3f2aaaab, v2
	v_cndmask_b32_e64 v3, 1.0, 2.0, vcc_lo
	v_mul_f32_e32 v2, v2, v3
	v_add_f32_e32 v3, 1.0, v2
	v_add_f32_e32 v7, -1.0, v2
	v_rcp_f32_e32 v6, v3
	v_add_f32_e32 v9, -1.0, v3
	v_sub_f32_e32 v2, v2, v9
	v_mul_f32_e32 v8, v7, v6
	v_mul_f32_e32 v10, v3, v8
	v_fma_f32 v3, v8, v3, -v10
	v_fmac_f32_e32 v3, v8, v2
	v_add_f32_e32 v2, v10, v3
	v_sub_f32_e32 v9, v7, v2
	v_sub_f32_e32 v10, v2, v10
	;; [unrolled: 1-line block ×5, first 2 shown]
	v_add_f32_e32 v2, v3, v2
	v_add_f32_e32 v2, v9, v2
	v_mul_f32_e32 v2, v6, v2
	v_add_f32_e32 v6, v8, v2
	v_sub_f32_e32 v3, v6, v8
	v_mul_f32_e32 v7, v6, v6
	v_sub_f32_e32 v8, v2, v3
	v_fma_f32 v2, v6, v6, -v7
	v_add_f32_e32 v3, v8, v8
	v_fmac_f32_e32 v2, v6, v3
	v_add_f32_e32 v9, v7, v2
	v_fmaak_f32 v3, s0, v9, 0x3e91f4c4
	v_sub_f32_e32 v7, v9, v7
	v_mul_f32_e32 v14, v6, v9
	v_fmaak_f32 v3, v9, v3, 0x3ecccdef
	v_sub_f32_e32 v7, v2, v7
	v_fma_f32 v15, v9, v6, -v14
	v_mul_f32_e32 v10, v9, v3
	v_fmac_f32_e32 v15, v9, v8
	v_ldexp_f32 v8, v8, 1
	v_fma_f32 v11, v9, v3, -v10
	v_fmac_f32_e32 v15, v7, v6
	v_fmac_f32_e32 v11, v7, v3
	v_cvt_f64_f32_e64 v[2:3], |v5|
	v_add_f32_e32 v12, v10, v11
	v_sub_f32_e32 v10, v12, v10
	v_add_f32_e32 v13, 0x3f2aaaaa, v12
	v_sub_f32_e32 v10, v11, v10
	v_add_f32_e32 v11, 0xbf2aaaaa, v13
	v_add_f32_e32 v10, 0x31739010, v10
	v_sub_f32_e32 v11, v12, v11
	v_frexp_exp_i32_f64_e32 v2, v[2:3]
	v_add_f32_e32 v9, v10, v11
	v_add_f32_e32 v10, v14, v15
	;; [unrolled: 1-line block ×3, first 2 shown]
	v_sub_f32_e32 v12, v10, v14
	v_sub_f32_e32 v3, v13, v7
	v_mul_f32_e32 v11, v10, v7
	v_sub_f32_e32 v12, v15, v12
	v_add_f32_e32 v3, v9, v3
	v_fma_f32 v9, v10, v7, -v11
	v_subrev_co_ci_u32_e64 v2, null, 0, v2, vcc_lo
	v_fmac_f32_e32 v9, v10, v3
	v_ldexp_f32 v3, v6, 1
	v_cvt_f32_i32_e32 v2, v2
	v_fmac_f32_e32 v9, v12, v7
	v_add_f32_e32 v6, v11, v9
	v_add_f32_e32 v7, v3, v6
	v_sub_f32_e32 v10, v6, v11
	v_mul_f32_e32 v11, 0x3f317218, v2
	v_sub_f32_e32 v3, v7, v3
	v_sub_f32_e32 v9, v9, v10
	v_fma_f32 v10, 0x3f317218, v2, -v11
	v_sub_f32_e32 v3, v6, v3
	v_add_f32_e32 v6, v8, v9
	v_fmamk_f32 v2, v2, 0xb102e308, v10
	v_add_f32_e32 v3, v6, v3
	v_add_f32_e32 v6, v11, v2
	;; [unrolled: 1-line block ×3, first 2 shown]
	v_sub_f32_e32 v11, v6, v11
	v_add_f32_e32 v9, v6, v8
	v_sub_f32_e32 v7, v8, v7
	v_sub_f32_e32 v2, v2, v11
	;; [unrolled: 1-line block ×6, first 2 shown]
	v_add_f32_e32 v8, v2, v3
	v_sub_f32_e32 v6, v6, v12
	v_add_f32_e32 v6, v7, v6
	v_sub_f32_e32 v7, v8, v2
	;; [unrolled: 2-line block ×3, first 2 shown]
	v_sub_f32_e32 v3, v3, v7
	v_add_f32_e32 v10, v9, v6
	v_sub_f32_e32 v2, v2, v8
	v_sub_f32_e32 v7, v10, v9
	v_add_f32_e32 v2, v3, v2
	v_sub_f32_e32 v3, v6, v7
	v_add_f32_e32 v2, v2, v3
	v_add_f32_e32 v3, v10, v2
	v_sub_f32_e32 v6, v3, v10
	v_mul_f32_e32 v7, v4, v3
	v_sub_f32_e32 v2, v2, v6
	v_fma_f32 v3, v4, v3, -v7
	v_cmp_class_f32_e64 vcc_lo, v7, 0x204
	v_fmac_f32_e32 v3, v4, v2
	v_add_f32_e32 v2, v7, v3
	v_cndmask_b32_e32 v6, v2, v7, vcc_lo
	v_sub_f32_e32 v2, v2, v7
	v_cmp_eq_f32_e32 vcc_lo, 0x42b17218, v6
	v_sub_f32_e32 v2, v3, v2
	v_cndmask_b32_e64 v8, 0, 0x37000000, vcc_lo
	v_cmp_neq_f32_e64 vcc_lo, 0x7f800000, |v6|
	v_sub_f32_e32 v9, v6, v8
	v_cndmask_b32_e32 v2, 0, v2, vcc_lo
	v_trunc_f32_e32 v6, v4
	v_mul_f32_e32 v10, 0x3fb8aa3b, v9
	v_cmp_ngt_f32_e32 vcc_lo, 0xc2ce8ed0, v9
	v_add_f32_e32 v2, v8, v2
	v_fma_f32 v11, 0x3fb8aa3b, v9, -v10
	v_rndne_f32_e32 v12, v10
	v_fmamk_f32 v11, v9, 0x32a5705f, v11
	v_sub_f32_e32 v10, v10, v12
	v_cvt_i32_f32_e32 v7, v12
	v_add_f32_e32 v10, v10, v11
	v_exp_f32_e32 v10, v10
	v_ldexp_f32 v3, v10, v7
	v_mul_f32_e32 v7, 0.5, v4
	v_cndmask_b32_e32 v3, 0, v3, vcc_lo
	v_cmp_nlt_f32_e32 vcc_lo, 0x42b17218, v9
	v_trunc_f32_e32 v10, v7
	v_cndmask_b32_e32 v3, 0x7f800000, v3, vcc_lo
	v_cmp_eq_f32_e32 vcc_lo, v6, v4
	v_cmp_neq_f32_e64 s0, v10, v7
	v_fma_f32 v2, v3, v2, v3
	v_cmp_class_f32_e64 s1, v3, 0x204
	s_and_b32 s0, vcc_lo, s0
	v_cndmask_b32_e64 v6, 1.0, v5, s0
	v_cndmask_b32_e64 v2, v2, v3, s1
	v_cmp_gt_f32_e64 s1, 0, v4
	v_bfi_b32 v2, 0x7fffffff, v2, v6
	s_xor_b32 s1, s1, s2
	v_cndmask_b32_e64 v6, 0, v5, s0
	v_cndmask_b32_e64 v3, 0x7f800000, 0, s1
	v_cmp_class_f32_e64 s0, v5, 0x204
	v_cndmask_b32_e32 v4, 0x7fc00000, v2, vcc_lo
	v_cmp_gt_f32_e32 vcc_lo, 0, v5
	v_bfi_b32 v3, 0x7fffffff, v3, v6
	v_cndmask_b32_e32 v2, v2, v4, vcc_lo
	s_or_b32 vcc_lo, s2, s0
	v_cndmask_b32_e32 v2, v2, v3, vcc_lo
	v_cmp_o_f32_e32 vcc_lo, v5, v5
	v_cndmask_b32_e32 v16, 0x7fc00000, v2, vcc_lo
.LBB0_2:
	s_load_dwordx16 s[8:23], s[4:5], 0x0
	s_waitcnt lgkmcnt(0)
	v_cmp_eq_u32_e64 s0, 0, v1
	s_mul_hi_u32 s41, s36, s25
	s_mul_hi_u32 s42, s39, s3
	s_and_saveexec_b32 s25, s0
	s_cbranch_execz .LBB0_15
; %bb.3:
	s_load_dwordx4 s[44:47], s[4:5], 0x70
	v_lshlrev_b32_e32 v2, 4, v0
	v_cmp_gt_u32_e32 vcc_lo, 16, v0
	v_mov_b32_e32 v4, 0
	v_mov_b32_e32 v5, 0
	s_waitcnt lgkmcnt(0)
	s_mul_i32 s1, s33, s46
	s_mul_i32 s2, s44, s6
	;; [unrolled: 1-line block ×3, first 2 shown]
	s_add_i32 s1, s1, s2
	s_add_i32 s1, s1, s3
	s_ashr_i32 s2, s1, 31
	s_add_u32 s1, s8, s1
	s_addc_u32 s2, s9, s2
	v_add_co_u32 v2, s1, s1, v2
	v_add_co_ci_u32_e64 v3, null, s2, 0, s1
	s_and_saveexec_b32 s1, vcc_lo
	s_cbranch_execz .LBB0_5
; %bb.4:
	global_load_dword v5, v[2:3], off
	s_waitcnt vmcnt(0)
	v_mul_f32_e32 v5, s24, v5
.LBB0_5:
	s_or_b32 exec_lo, exec_lo, s1
	s_and_saveexec_b32 s1, vcc_lo
	s_cbranch_execz .LBB0_7
; %bb.6:
	global_load_dword v4, v[2:3], off offset:4
	s_waitcnt vmcnt(0)
	v_mul_f32_e32 v4, s24, v4
.LBB0_7:
	s_or_b32 exec_lo, exec_lo, s1
	v_mov_b32_e32 v6, 0
	v_mov_b32_e32 v7, 0
	s_and_saveexec_b32 s1, vcc_lo
	s_cbranch_execz .LBB0_9
; %bb.8:
	global_load_dword v7, v[2:3], off offset:8
	s_waitcnt vmcnt(0)
	v_mul_f32_e32 v7, s24, v7
.LBB0_9:
	s_or_b32 exec_lo, exec_lo, s1
	s_and_saveexec_b32 s1, vcc_lo
	s_cbranch_execz .LBB0_11
; %bb.10:
	global_load_dword v2, v[2:3], off offset:12
	s_waitcnt vmcnt(0)
	v_mul_f32_e32 v6, s24, v2
.LBB0_11:
	s_or_b32 exec_lo, exec_lo, s1
	v_mbcnt_lo_u32_b32 v2, -1, 0
	v_max_f32_e64 v3, |v4|, |v4|
	v_max_f32_e64 v8, |v5|, |v5|
	s_mov_b32 s8, exec_lo
	v_xor_b32_e32 v9, 4, v2
	v_xor_b32_e32 v10, 2, v2
	v_max_f32_e32 v3, v8, v3
	v_xor_b32_e32 v11, 1, v2
	v_cmp_gt_i32_e32 vcc_lo, 32, v9
	v_max3_f32 v3, v3, |v7|, |v6|
	v_cndmask_b32_e32 v8, v2, v9, vcc_lo
	v_cmp_gt_i32_e32 vcc_lo, 32, v10
	v_lshlrev_b32_e32 v8, 2, v8
	v_cndmask_b32_e32 v10, v2, v10, vcc_lo
	v_cmp_gt_i32_e32 vcc_lo, 32, v11
	ds_bpermute_b32 v9, v8, v3
	v_lshlrev_b32_e32 v10, 2, v10
	v_cndmask_b32_e32 v2, v2, v11, vcc_lo
	v_add_f32_e32 v11, v5, v4
	v_lshlrev_b32_e32 v2, 2, v2
	v_add_f32_e32 v11, v11, v7
	v_add_f32_e32 v11, v11, v6
	ds_bpermute_b32 v8, v8, v11
	s_waitcnt lgkmcnt(1)
	v_max_f32_e32 v9, v9, v9
	v_max_f32_e32 v3, v3, v9
	ds_bpermute_b32 v9, v10, v3
	s_waitcnt lgkmcnt(0)
	v_max_f32_e32 v9, v9, v9
	v_max_f32_e32 v3, v3, v9
	;; [unrolled: 4-line block ×3, first 2 shown]
	v_add_f32_e32 v3, v11, v8
	v_div_scale_f32 v12, null, 0x42fe0000, 0x42fe0000, v9
	ds_bpermute_b32 v10, v10, v3
	v_div_scale_f32 v11, vcc_lo, v9, 0x42fe0000, v9
	v_rcp_f32_e32 v13, v12
	v_fma_f32 v8, -v12, v13, 1.0
	v_fmac_f32_e32 v13, v8, v13
	s_waitcnt lgkmcnt(0)
	v_add_f32_e32 v3, v3, v10
	v_mul_f32_e32 v14, v11, v13
	v_fma_f32 v8, -v12, v14, v11
	v_fmac_f32_e32 v14, v8, v13
	ds_bpermute_b32 v8, v2, v3
	v_fma_f32 v2, -v12, v14, v11
	v_div_fmas_f32 v2, v2, v13, v14
	v_div_fixup_f32 v2, v2, 0x42fe0000, v9
	v_mov_b32_e32 v9, 0
	v_cmpx_neq_f32_e32 0, v2
	s_cbranch_execz .LBB0_13
; %bb.12:
	v_div_scale_f32 v9, null, v2, v2, v5
	v_div_scale_f32 v10, null, v2, v2, v4
	;; [unrolled: 1-line block ×3, first 2 shown]
	v_rcp_f32_e32 v11, v9
	v_div_scale_f32 v13, null, v2, v2, v6
	v_rcp_f32_e32 v14, v10
	v_rcp_f32_e32 v15, v12
	v_div_scale_f32 v20, vcc_lo, v5, v2, v5
	v_rcp_f32_e32 v17, v13
	v_fma_f32 v18, -v9, v11, 1.0
	v_fma_f32 v19, -v10, v14, 1.0
	;; [unrolled: 1-line block ×3, first 2 shown]
	v_fmac_f32_e32 v11, v18, v11
	v_div_scale_f32 v18, s1, v4, v2, v4
	v_fma_f32 v22, -v13, v17, 1.0
	v_fmac_f32_e32 v14, v19, v14
	v_fmac_f32_e32 v15, v21, v15
	v_div_scale_f32 v19, s2, v7, v2, v7
	v_fmac_f32_e32 v17, v22, v17
	v_mul_f32_e32 v22, v20, v11
	v_mul_f32_e32 v23, v18, v14
	;; [unrolled: 1-line block ×3, first 2 shown]
	v_div_scale_f32 v21, s3, v6, v2, v6
	v_fma_f32 v26, -v9, v22, v20
	v_fma_f32 v27, -v10, v23, v18
	;; [unrolled: 1-line block ×3, first 2 shown]
	v_mul_f32_e32 v25, v21, v17
	v_fmac_f32_e32 v22, v26, v11
	v_fmac_f32_e32 v23, v27, v14
	;; [unrolled: 1-line block ×3, first 2 shown]
	v_fma_f32 v29, -v13, v25, v21
	v_fma_f32 v9, -v9, v22, v20
	;; [unrolled: 1-line block ×4, first 2 shown]
	v_fmac_f32_e32 v25, v29, v17
	v_div_fmas_f32 v9, v9, v11, v22
	s_mov_b32 vcc_lo, s1
	v_div_fmas_f32 v10, v10, v14, v23
	s_mov_b32 vcc_lo, s2
	v_div_fixup_f32 v5, v9, v2, v5
	v_div_fmas_f32 v11, v12, v15, v24
	v_fma_f32 v12, -v13, v25, v21
	s_mov_b32 vcc_lo, s3
	v_div_fixup_f32 v4, v10, v2, v4
	v_div_fixup_f32 v7, v11, v2, v7
	v_div_fmas_f32 v11, v12, v17, v25
	v_trunc_f32_e32 v10, v4
	v_trunc_f32_e32 v12, v7
	v_div_fixup_f32 v6, v11, v2, v6
	v_trunc_f32_e32 v11, v5
	v_sub_f32_e32 v14, v4, v10
	v_sub_f32_e32 v9, v7, v12
	v_trunc_f32_e32 v13, v6
	v_sub_f32_e32 v17, v5, v11
	v_cmp_ge_f32_e64 s1, |v9|, 0.5
	v_sub_f32_e32 v15, v6, v13
	v_cndmask_b32_e64 v9, 0, 1.0, s1
	v_cmp_ge_f32_e64 s1, |v14|, 0.5
	v_bfi_b32 v7, 0x7fffffff, v9, v7
	v_cndmask_b32_e64 v9, 0, 1.0, s1
	v_cmp_ge_f32_e64 s1, |v15|, 0.5
	v_add_f32_e32 v7, v12, v7
	v_bfi_b32 v4, 0x7fffffff, v9, v4
	v_cndmask_b32_e64 v14, 0, 1.0, s1
	v_cmp_ge_f32_e64 s1, |v17|, 0.5
	v_mov_b32_e32 v9, 8
	v_cvt_i32_f32_e32 v7, v7
	v_add_f32_e32 v4, v10, v4
	v_bfi_b32 v6, 0x7fffffff, v14, v6
	v_cndmask_b32_e64 v12, 0, 1.0, s1
	v_and_b32_e32 v7, 0xff, v7
	v_cvt_i32_f32_e32 v4, v4
	v_add_f32_e32 v6, v13, v6
	v_bfi_b32 v5, 0x7fffffff, v12, v5
	v_lshlrev_b32_e32 v7, 16, v7
	v_lshlrev_b32_sdwa v4, v9, v4 dst_sel:DWORD dst_unused:UNUSED_PAD src0_sel:DWORD src1_sel:BYTE_0
	v_cvt_i32_f32_e32 v6, v6
	v_add_f32_e32 v5, v11, v5
	v_lshl_or_b32 v6, v6, 24, v7
	v_cvt_i32_f32_e32 v5, v5
	v_and_b32_e32 v5, 0xff, v5
	v_or3_b32 v9, v6, v4, v5
.LBB0_13:
	s_or_b32 exec_lo, exec_lo, s8
	v_and_b32_e32 v4, 0x77, v0
	v_lshlrev_b32_e32 v5, 2, v0
	v_cmp_eq_u32_e32 vcc_lo, 0, v4
	ds_write_b32 v5, v9
	s_and_b32 exec_lo, exec_lo, vcc_lo
	s_cbranch_execz .LBB0_15
; %bb.14:
	s_waitcnt lgkmcnt(1)
	v_add_f32_e32 v3, v3, v8
	ds_write_b64 v0, v[2:3] offset:64
.LBB0_15:
	s_or_b32 exec_lo, exec_lo, s25
	v_and_b32_e32 v14, 1, v0
	v_mov_b32_e32 v21, 0
	s_waitcnt lgkmcnt(0)
	s_barrier
	buffer_gl0_inv
	v_lshlrev_b32_e32 v27, 2, v14
	s_ashr_i32 s31, s30, 31
	s_ashr_i32 s1, s40, 31
	;; [unrolled: 1-line block ×3, first 2 shown]
	s_cmp_eq_u64 s[18:19], 0
	ds_read2_b32 v[6:7], v27 offset1:2
	ds_read2_b32 v[8:9], v27 offset0:4 offset1:6
	ds_read2_b32 v[10:11], v27 offset0:8 offset1:10
	;; [unrolled: 1-line block ×3, first 2 shown]
	ds_read_b128 v[2:5], v21 offset:64
	s_waitcnt lgkmcnt(0)
	s_barrier
	buffer_gl0_inv
	s_cbranch_scc1 .LBB0_17
; %bb.16:
	s_load_dword s2, s[4:5], 0xd0
	s_mov_b32 s3, 0
	s_waitcnt lgkmcnt(0)
	s_mul_i32 s2, s2, s33
	s_add_i32 s2, s2, s6
	s_lshl_b64 s[2:3], s[2:3], 2
	s_add_u32 s2, s18, s2
	s_addc_u32 s3, s19, s3
	s_load_dword s34, s[2:3], 0x0
.LBB0_17:
	v_lshlrev_b32_e32 v15, 5, v1
	v_mbcnt_lo_u32_b32 v20, -1, 0
	v_lshlrev_b32_e32 v19, 2, v0
	s_lshl_b32 s2, s7, 7
	s_mov_b32 s3, 0
	v_add_nc_u32_e32 v17, v15, v0
	s_waitcnt lgkmcnt(0)
	s_cmp_ge_i32 s2, s34
	v_lshlrev_b32_e32 v18, 1, v17
	s_cbranch_scc1 .LBB0_25
; %bb.18:
	s_clause 0x1
	s_load_dwordx4 s[24:27], s[4:5], 0x98
	s_load_dwordx2 s[18:19], s[4:5], 0x8c
	s_xor_b32 s40, s31, s1
	s_mul_i32 s1, s41, s38
	s_add_i32 s43, s41, 1
	s_sub_i32 s1, s36, s1
	s_mul_i32 s42, s42, s35
	s_sub_i32 s44, s1, s38
	s_mul_i32 s48, s37, s6
	v_and_b32_e32 v21, 0x7e, v0
	v_lshrrev_b32_e32 v22, 4, v0
	v_bfe_u32 v23, v0, 3, 1
	v_and_b32_e32 v24, 28, v19
	v_add_nc_u32_e32 v21, v15, v21
	v_or_b32_e32 v28, v15, v22
	v_add_nc_u32_e32 v29, v15, v22
	v_mul_hi_u32_u24_e32 v15, 34, v23
	v_lshlrev_b32_e32 v22, 1, v21
	s_waitcnt lgkmcnt(0)
	s_mul_hi_u32 s8, s24, s33
	s_mul_i32 s9, s24, s45
	s_mul_i32 s25, s25, s33
	s_add_i32 s8, s8, s9
	v_add_nc_u32_e32 v25, 30, v29
	s_add_i32 s25, s8, s25
	s_cmp_ge_u32 s1, s38
	s_clause 0x2
	s_load_dwordx2 s[36:37], s[4:5], 0xa8
	s_load_dwordx2 s[8:9], s[4:5], 0xc8
	s_load_dword s46, s[4:5], 0xd4
	s_cselect_b32 s41, s43, s41
	s_cselect_b32 s1, s44, s1
	s_add_i32 s43, s41, 1
	s_cmp_ge_u32 s1, s38
	v_cmp_eq_u32_e64 s1, 0, v14
	s_cselect_b32 s38, s43, s41
	s_sub_i32 s41, s39, s42
	s_xor_b32 s38, s38, s40
	s_sub_i32 s42, s41, s35
	s_sub_i32 s38, s38, s40
	v_mul_u32_u24_e32 v14, 34, v23
	s_mul_i32 s39, s38, s19
	s_mul_i32 s27, s38, s27
	s_ashr_i32 s40, s39, 31
	s_ashr_i32 s38, s27, 31
	s_cmp_ge_u32 s41, s35
	v_mul_lo_u32 v25, s26, v25
	s_cselect_b32 s19, s42, s41
	v_add_nc_u32_e32 v32, 26, v29
	s_sub_i32 s41, s19, s35
	s_cmp_ge_u32 s19, s35
	s_mul_i32 s35, s24, s33
	s_cselect_b32 s19, s41, s19
	s_ashr_i32 s49, s48, 31
	s_xor_b32 s19, s19, s45
	v_ashrrev_i32_e32 v31, 31, v25
	s_sub_i32 s19, s19, s45
	v_add_nc_u32_e32 v33, 24, v29
	s_ashr_i32 s24, s19, 31
	s_waitcnt lgkmcnt(0)
	s_mul_hi_u32 s41, s8, s19
	s_mul_i32 s24, s8, s24
	s_mul_i32 s9, s9, s19
	s_add_i32 s24, s41, s24
	v_mul_lo_u32 v32, s26, v32
	s_add_i32 s24, s24, s9
	s_cmp_lg_u64 s[14:15], 0
	s_mul_i32 s9, s8, s19
	s_cselect_b32 s19, -1, 0
	s_lshl_b32 s8, s46, 7
	s_add_u32 s43, s10, s39
	s_addc_u32 s44, s11, s40
	s_add_u32 s41, s43, s35
	s_addc_u32 s42, s44, s25
	s_lshl_b64 s[46:47], s[2:3], 1
	v_add_nc_u32_e32 v34, 22, v29
	s_add_u32 s9, s9, s46
	s_addc_u32 s24, s24, s47
	s_add_u32 s14, s14, s48
	s_addc_u32 s15, s15, s49
	;; [unrolled: 2-line block ×3, first 2 shown]
	v_add_co_u32 v26, s9, s9, v22
	v_mad_u64_u32 v[22:23], null, s36, s33, v[14:15]
	v_add_co_ci_u32_e64 v30, null, s14, 0, s9
	s_mul_i32 s9, s37, s33
	s_mul_i32 s14, s36, s45
	v_add_co_u32 v14, vcc_lo, v26, 2
	v_add_nc_u32_e32 v26, 28, v29
	v_add3_u32 v23, s14, s9, v23
	v_add_co_ci_u32_e64 v15, null, 0, v30, vcc_lo
	v_add_co_u32 v24, vcc_lo, v22, v24
	v_mul_lo_u32 v26, s26, v26
	v_add_co_ci_u32_e64 v30, null, 0, v23, vcc_lo
	v_add_co_u32 v37, vcc_lo, v24, v25
	v_add_nc_u32_e32 v35, 20, v29
	v_add_co_ci_u32_e64 v38, null, v30, v31, vcc_lo
	v_add_co_u32 v39, vcc_lo, v22, v25
	v_mul_lo_u32 v33, s26, v33
	v_add_co_ci_u32_e64 v40, null, v23, v31, vcc_lo
	v_ashrrev_i32_e32 v31, 31, v26
	v_add_co_u32 v61, vcc_lo, v24, v26
	v_mul_lo_u32 v34, s26, v34
	v_mul_lo_u32 v25, s26, v35
	v_ashrrev_i32_e32 v35, 31, v32
	v_add_co_ci_u32_e64 v62, null, v30, v31, vcc_lo
	v_add_co_u32 v63, vcc_lo, v22, v26
	v_add_nc_u32_e32 v36, 18, v29
	v_add_co_ci_u32_e64 v64, null, v23, v31, vcc_lo
	v_add_co_u32 v65, vcc_lo, v24, v32
	v_ashrrev_i32_e32 v41, 31, v33
	v_add_co_ci_u32_e64 v66, null, v30, v35, vcc_lo
	v_add_co_u32 v67, vcc_lo, v22, v32
	v_add_nc_u32_e32 v42, 16, v29
	v_add_co_ci_u32_e64 v68, null, v23, v35, vcc_lo
	v_add_co_u32 v69, vcc_lo, v24, v33
	v_mul_lo_u32 v36, s26, v36
	v_ashrrev_i32_e32 v43, 31, v34
	v_add_co_ci_u32_e64 v70, null, v30, v41, vcc_lo
	v_add_co_u32 v71, vcc_lo, v22, v33
	v_add_nc_u32_e32 v44, 14, v29
	v_add_co_ci_u32_e64 v72, null, v23, v41, vcc_lo
	v_add_co_u32 v73, vcc_lo, v24, v34
	v_ashrrev_i32_e32 v45, 31, v25
	v_mul_lo_u32 v42, s26, v42
	v_add_co_ci_u32_e64 v74, null, v30, v43, vcc_lo
	v_add_co_u32 v75, vcc_lo, v22, v34
	v_add_nc_u32_e32 v46, 12, v29
	v_add_co_ci_u32_e64 v76, null, v23, v43, vcc_lo
	v_add_co_u32 v77, vcc_lo, v24, v25
	v_ashrrev_i32_e32 v47, 31, v36
	v_mul_lo_u32 v44, s26, v44
	v_add_co_ci_u32_e64 v78, null, v30, v45, vcc_lo
	v_add_co_u32 v79, vcc_lo, v22, v25
	v_add_nc_u32_e32 v48, 10, v29
	v_add_co_ci_u32_e64 v80, null, v23, v45, vcc_lo
	v_add_co_u32 v81, vcc_lo, v24, v36
	v_mul_lo_u32 v46, s26, v46
	v_ashrrev_i32_e32 v53, 31, v42
	v_add_co_ci_u32_e64 v82, null, v30, v47, vcc_lo
	v_add_co_u32 v83, vcc_lo, v22, v36
	v_add_nc_u32_e32 v49, 8, v29
	v_add_co_ci_u32_e64 v84, null, v23, v47, vcc_lo
	v_add_co_u32 v85, vcc_lo, v24, v42
	v_mul_lo_u32 v48, s26, v48
	v_ashrrev_i32_e32 v54, 31, v44
	;; [unrolled: 7-line block ×5, first 2 shown]
	v_add_co_ci_u32_e64 v98, null, v30, v56, vcc_lo
	v_add_co_u32 v99, vcc_lo, v22, v48
	v_add_co_ci_u32_e64 v100, null, v23, v56, vcc_lo
	v_add_co_u32 v101, vcc_lo, v24, v49
	v_mul_lo_u32 v52, s26, v52
	v_ashrrev_i32_e32 v58, 31, v50
	v_add_co_ci_u32_e64 v102, null, v30, v57, vcc_lo
	v_add_co_u32 v103, vcc_lo, v22, v49
	v_add_co_ci_u32_e64 v104, null, v23, v57, vcc_lo
	v_add_co_u32 v105, vcc_lo, v24, v50
	v_ashrrev_i32_e32 v59, 31, v51
	v_add_co_ci_u32_e64 v106, null, v30, v58, vcc_lo
	v_add_co_u32 v107, vcc_lo, v22, v50
	v_add_co_ci_u32_e64 v108, null, v23, v58, vcc_lo
	v_add_co_u32 v109, vcc_lo, v24, v51
	;; [unrolled: 5-line block ×3, first 2 shown]
	v_add_co_ci_u32_e64 v114, null, v30, v60, vcc_lo
	v_add_co_u32 v115, vcc_lo, v22, v52
	v_mul_lo_u32 v25, s26, v29
	v_add_co_ci_u32_e64 v116, null, v23, v60, vcc_lo
	v_add_co_u32 v24, vcc_lo, v24, s27
	v_add_co_ci_u32_e64 v26, null, s38, v30, vcc_lo
	v_and_b32_e32 v30, 30, v20
	v_ashrrev_i32_e32 v31, 31, v25
	v_xor_b32_e32 v32, 1, v20
	v_add_co_u32 v22, vcc_lo, v22, s27
	v_add_nc_u32_e32 v30, 2, v30
	v_add_co_ci_u32_e64 v23, null, s38, v23, vcc_lo
	v_add_co_u32 v117, vcc_lo, v24, v25
	v_add_co_ci_u32_e64 v118, null, v26, v31, vcc_lo
	v_cmp_lt_i32_e32 vcc_lo, v32, v30
	v_mul_lo_u32 v21, v21, s18
	v_xor_b32_e32 v26, 16, v20
	s_mov_b32 s9, s3
	v_add_co_u32 v33, s3, s35, v27
	v_cndmask_b32_e32 v24, v20, v32, vcc_lo
	v_add_co_u32 v119, vcc_lo, v22, v25
	v_add_co_ci_u32_e64 v120, null, v23, v31, vcc_lo
	v_xor_b32_e32 v23, 2, v20
	v_lshlrev_b32_e32 v22, 2, v24
	v_xor_b32_e32 v24, 4, v20
	v_xor_b32_e32 v25, 8, v20
	v_add_nc_u32_e32 v31, s18, v21
	v_cmp_gt_i32_e32 vcc_lo, 32, v23
	v_add_co_ci_u32_e64 v34, null, s25, 0, s3
	v_lshlrev_b32_e32 v27, 1, v28
	v_ashrrev_i32_e32 v32, 31, v31
	v_cndmask_b32_e32 v23, v20, v23, vcc_lo
	v_cmp_gt_i32_e32 vcc_lo, 32, v24
	v_lshlrev_b32_e32 v28, 1, v29
	s_lshl_b64 s[14:15], s[8:9], 1
	s_add_u32 s3, s35, s39
	s_addc_u32 s9, s25, s40
	v_cndmask_b32_e32 v24, v20, v24, vcc_lo
	v_cmp_gt_i32_e32 vcc_lo, 32, v25
	s_add_u32 s3, s10, s3
	s_addc_u32 s9, s11, s9
	v_lshlrev_b32_e32 v23, 2, v23
	v_lshlrev_b32_e32 v24, 2, v24
	v_cndmask_b32_e32 v25, v20, v25, vcc_lo
	v_cmp_gt_i32_e32 vcc_lo, 32, v26
	s_mul_i32 s24, s26, s2
	v_lshlrev_b32_e32 v25, 2, v25
	v_cndmask_b32_e32 v26, v20, v26, vcc_lo
	v_add_co_u32 v30, vcc_lo, v33, v31
	v_add_co_ci_u32_e64 v35, null, v34, v32, vcc_lo
	v_lshlrev_b32_e32 v26, 2, v26
	v_add_co_u32 v29, vcc_lo, s43, v30
	v_add_co_ci_u32_e64 v30, null, s44, v35, vcc_lo
	v_add_co_u32 v33, vcc_lo, v33, s39
	v_add_co_ci_u32_e64 v34, null, s40, v34, vcc_lo
	v_ashrrev_i32_e32 v35, 31, v21
	v_add_co_u32 v31, vcc_lo, s41, v31
	v_add_co_ci_u32_e64 v32, null, s42, v32, vcc_lo
	v_add_co_u32 v33, vcc_lo, v33, v21
	v_add_co_ci_u32_e64 v34, null, v34, v35, vcc_lo
	v_add_co_u32 v21, vcc_lo, s3, v21
	v_add_co_ci_u32_e64 v36, null, s9, v35, vcc_lo
	v_add_co_u32 v33, vcc_lo, s10, v33
	v_add_co_ci_u32_e64 v34, null, s11, v34, vcc_lo
	v_add_co_u32 v35, vcc_lo, v21, 18
	s_add_u32 s3, s12, s27
	v_add_co_ci_u32_e64 v36, null, 0, v36, vcc_lo
	s_addc_u32 s9, s13, s38
	v_add_co_u32 v37, vcc_lo, s3, v37
	v_add_co_ci_u32_e64 v38, null, s9, v38, vcc_lo
	v_add_co_u32 v39, vcc_lo, s3, v39
	v_add_co_ci_u32_e64 v40, null, s9, v40, vcc_lo
	;; [unrolled: 2-line block ×32, first 2 shown]
	v_mov_b32_e32 v21, 0
	v_mov_b32_e32 v105, 0xfeffffff
	;; [unrolled: 1-line block ×5, first 2 shown]
	s_mul_i32 s3, s18, s2
	s_mul_i32 s9, s8, s18
	;; [unrolled: 1-line block ×3, first 2 shown]
.LBB0_19:                               ; =>This Inner Loop Header: Depth=1
	v_add_co_u32 v106, vcc_lo, v33, s3
	v_add_co_ci_u32_e64 v107, null, 0, v34, vcc_lo
	v_mov_b32_e32 v112, 0
	v_mov_b32_e32 v113, 0
	;; [unrolled: 1-line block ×3, first 2 shown]
	s_clause 0x3
	global_load_dword v102, v[106:107], off offset:2
	global_load_dword v108, v[106:107], off offset:10
	;; [unrolled: 1-line block ×4, first 2 shown]
	v_add_co_u32 v106, vcc_lo, v35, s3
	v_add_co_ci_u32_e64 v107, null, 0, v36, vcc_lo
	v_mov_b32_e32 v115, 0
	v_mov_b32_e32 v116, 0
	s_clause 0x1
	global_load_ushort v111, v[106:107], off offset:-18
	global_load_ushort v106, v[106:107], off
	v_mov_b32_e32 v107, 0
	v_mov_b32_e32 v118, 0
	;; [unrolled: 1-line block ×3, first 2 shown]
	s_and_b32 vcc_lo, exec_lo, s19
	s_waitcnt vmcnt(5)
	v_and_b32_e32 v117, 0xf0f0f0f, v102
	s_waitcnt vmcnt(4)
	v_and_b32_e32 v120, 0xf0f0f0f, v108
	v_lshrrev_b32_e32 v102, 4, v102
	v_lshrrev_b32_e32 v108, 4, v108
	v_dot4c_i32_i8 v107, v117, v6
	v_dot4c_i32_i8 v112, v120, v7
	v_and_b32_e32 v102, 0xf0f0f0f, v102
	v_and_b32_e32 v108, 0xf0f0f0f, v108
	s_waitcnt vmcnt(3)
	v_and_b32_e32 v117, 0xf0f0f0f, v109
	v_cvt_f32_i32_e32 v107, v107
	v_cvt_f32_i32_e32 v112, v112
	v_dot4c_i32_i8 v113, v102, v8
	v_dot4c_i32_i8 v114, v108, v9
	s_waitcnt vmcnt(2)
	v_and_b32_e32 v120, 0xf0f0f0f, v110
	v_fma_f32 v102, v2, v107, -v3
	v_lshrrev_b32_e32 v107, 4, v109
	v_fma_f32 v108, v2, v112, -v3
	v_cvt_f32_i32_e32 v109, v113
	v_dot4c_i32_i8 v115, v117, v10
	s_waitcnt vmcnt(1)
	v_fma_mix_f32 v102, v102, v111, 0 op_sel_hi:[0,1,0]
	v_cvt_f32_i32_e32 v112, v114
	v_lshrrev_b32_e32 v110, 4, v110
	v_fma_f32 v109, v2, v109, -v3
	v_dot4c_i32_i8 v116, v120, v11
	v_fma_mix_f32 v102, v108, v111, v102 op_sel_hi:[0,1,0]
	v_and_b32_e32 v107, 0xf0f0f0f, v107
	v_cvt_f32_i32_e32 v108, v115
	v_fma_f32 v112, v2, v112, -v3
	v_fma_mix_f32 v102, v109, v111, v102 op_sel_hi:[0,1,0]
	v_and_b32_e32 v109, 0xf0f0f0f, v110
	v_cvt_f32_i32_e32 v110, v116
	v_dot4c_i32_i8 v118, v107, v12
	v_fma_f32 v107, v4, v108, -v5
	v_fma_mix_f32 v102, v112, v111, v102 op_sel_hi:[0,1,0]
	v_dot4c_i32_i8 v119, v109, v13
	v_fma_f32 v108, v4, v110, -v5
	v_cvt_f32_i32_e32 v109, v118
	s_waitcnt vmcnt(0)
	v_fma_mix_f32 v102, v107, v106, v102 op_sel_hi:[0,1,0]
	v_cvt_f32_i32_e32 v107, v119
	v_fma_f32 v109, v4, v109, -v5
	v_fma_mix_f32 v102, v108, v106, v102 op_sel_hi:[0,1,0]
	v_fma_f32 v107, v4, v107, -v5
	v_fma_mix_f32 v102, v109, v106, v102 op_sel_hi:[0,1,0]
	v_fma_mix_f32 v102, v107, v106, v102 op_sel_hi:[0,1,0]
	ds_bpermute_b32 v106, v22, v102
	s_waitcnt lgkmcnt(0)
	v_add_f32_e32 v106, v102, v106
	s_cbranch_vccz .LBB0_21
; %bb.20:                               ;   in Loop: Header=BB0_19 Depth=1
	global_load_ushort v102, v[14:15], off offset:-2
	s_waitcnt vmcnt(0)
	v_fma_mix_f32 v106, v16, v102, v106 op_sel_hi:[0,1,0]
.LBB0_21:                               ;   in Loop: Header=BB0_19 Depth=1
	v_add_co_u32 v107, vcc_lo, v29, s3
	v_add_co_ci_u32_e64 v108, null, 0, v30, vcc_lo
	v_add_co_u32 v109, vcc_lo, v31, s3
	v_add_co_ci_u32_e64 v110, null, 0, v32, vcc_lo
	s_clause 0x3
	global_load_dword v102, v[107:108], off offset:2
	global_load_dword v111, v[107:108], off offset:10
	;; [unrolled: 1-line block ×4, first 2 shown]
	s_clause 0x1
	global_load_ushort v108, v[109:110], off
	global_load_ushort v109, v[109:110], off offset:18
	v_mov_b32_e32 v110, 0
	v_mov_b32_e32 v113, 0
	;; [unrolled: 1-line block ×7, first 2 shown]
	s_andn2_b32 vcc_lo, exec_lo, s19
	s_waitcnt vmcnt(5)
	v_and_b32_e32 v117, 0xf0f0f0f, v102
	s_waitcnt vmcnt(4)
	v_and_b32_e32 v120, 0xf0f0f0f, v111
	v_lshrrev_b32_e32 v102, 4, v102
	v_lshrrev_b32_e32 v111, 4, v111
	v_dot4c_i32_i8 v110, v117, v6
	v_dot4c_i32_i8 v113, v120, v7
	v_and_b32_e32 v102, 0xf0f0f0f, v102
	v_and_b32_e32 v111, 0xf0f0f0f, v111
	s_waitcnt vmcnt(3)
	v_and_b32_e32 v120, 0xf0f0f0f, v112
	v_cvt_f32_i32_e32 v110, v110
	v_cvt_f32_i32_e32 v113, v113
	v_dot4c_i32_i8 v114, v102, v8
	v_dot4c_i32_i8 v115, v111, v9
	v_lshrrev_b32_e32 v112, 4, v112
	v_fma_f32 v102, v2, v110, -v3
	v_fma_f32 v111, v2, v113, -v3
	v_cvt_f32_i32_e32 v113, v114
	s_waitcnt vmcnt(2)
	v_and_b32_e32 v110, 0xf0f0f0f, v107
	v_dot4c_i32_i8 v116, v120, v10
	s_waitcnt vmcnt(1)
	v_fma_mix_f32 v102, v102, v108, 0 op_sel_hi:[0,1,0]
	v_cvt_f32_i32_e32 v114, v115
	v_fma_f32 v113, v2, v113, -v3
	v_lshrrev_b32_e32 v107, 4, v107
	v_dot4c_i32_i8 v118, v110, v11
	v_fma_mix_f32 v102, v111, v108, v102 op_sel_hi:[0,1,0]
	v_cvt_f32_i32_e32 v110, v116
	v_fma_f32 v111, v2, v114, -v3
	v_and_b32_e32 v112, 0xf0f0f0f, v112
	v_mov_b32_e32 v117, 0
	v_fma_mix_f32 v102, v113, v108, v102 op_sel_hi:[0,1,0]
	v_and_b32_e32 v107, 0xf0f0f0f, v107
	v_cvt_f32_i32_e32 v113, v118
	v_fma_f32 v110, v4, v110, -v5
	v_dot4c_i32_i8 v119, v112, v12
	v_fma_mix_f32 v102, v111, v108, v102 op_sel_hi:[0,1,0]
	v_dot4c_i32_i8 v117, v107, v13
	v_fma_f32 v107, v4, v113, -v5
	v_cvt_f32_i32_e32 v108, v119
	s_waitcnt vmcnt(0)
	v_fma_mix_f32 v102, v110, v109, v102 op_sel_hi:[0,1,0]
	v_cvt_f32_i32_e32 v110, v117
	v_fma_mix_f32 v102, v107, v109, v102 op_sel_hi:[0,1,0]
	v_fma_f32 v107, v4, v108, -v5
	v_fma_f32 v108, v4, v110, -v5
	v_fma_mix_f32 v102, v107, v109, v102 op_sel_hi:[0,1,0]
	v_fma_mix_f32 v102, v108, v109, v102 op_sel_hi:[0,1,0]
	ds_bpermute_b32 v107, v22, v102
	s_waitcnt lgkmcnt(0)
	v_add_f32_e32 v107, v102, v107
	s_cbranch_vccnz .LBB0_23
; %bb.22:                               ;   in Loop: Header=BB0_19 Depth=1
	global_load_ushort v102, v[14:15], off
	s_waitcnt vmcnt(0)
	v_fma_mix_f32 v107, v16, v102, v107 op_sel_hi:[0,1,0]
.LBB0_23:                               ;   in Loop: Header=BB0_19 Depth=1
	v_add_f32_e32 v102, 0x40051340, v106
	v_add_f32_e32 v108, 0x40051340, v107
	v_cndmask_b32_e64 v106, v107, v106, s1
	s_add_i32 s2, s2, s8
	s_cmp_ge_i32 s2, s34
	v_max3_f32 v102, v105, v102, v108
	ds_bpermute_b32 v108, v23, v102
	s_waitcnt lgkmcnt(0)
	v_max_f32_e32 v108, v108, v108
	v_max_f32_e32 v102, v102, v108
	ds_bpermute_b32 v108, v24, v102
	s_waitcnt lgkmcnt(0)
	v_max_f32_e32 v108, v108, v108
	v_max_f32_e32 v102, v102, v108
	;; [unrolled: 4-line block ×4, first 2 shown]
	v_sub_f32_e32 v105, v105, v102
	v_sub_f32_e32 v106, v106, v102
	v_mul_f32_e32 v107, 0x3fb8aa3b, v105
	v_cmp_ngt_f32_e32 vcc_lo, 0xc2ce8ed0, v105
	v_fma_f32 v108, 0x3fb8aa3b, v105, -v107
	v_rndne_f32_e32 v109, v107
	v_fmac_f32_e32 v108, 0x32a5705f, v105
	v_sub_f32_e32 v107, v107, v109
	v_add_f32_e32 v107, v107, v108
	v_cvt_i32_f32_e32 v108, v109
	v_exp_f32_e32 v107, v107
	v_ldexp_f32 v107, v107, v108
	v_cndmask_b32_e32 v107, 0, v107, vcc_lo
	v_cmp_nlt_f32_e32 vcc_lo, 0x42b17218, v105
	v_cndmask_b32_e32 v105, 0x7f800000, v107, vcc_lo
	v_mul_f32_e32 v107, 0x3fb8aa3b, v106
	v_cmp_ngt_f32_e32 vcc_lo, 0xc2ce8ed0, v106
	v_fma_f32 v108, 0x3fb8aa3b, v106, -v107
	v_rndne_f32_e32 v109, v107
	v_fmac_f32_e32 v108, 0x32a5705f, v106
	v_sub_f32_e32 v107, v107, v109
	v_add_f32_e32 v107, v107, v108
	v_cvt_i32_f32_e32 v108, v109
	v_exp_f32_e32 v107, v107
	v_ldexp_f32 v107, v107, v108
	v_cndmask_b32_e32 v107, 0, v107, vcc_lo
	v_cmp_nlt_f32_e32 vcc_lo, 0x42b17218, v106
	v_cndmask_b32_e32 v106, 0x7f800000, v107, vcc_lo
	v_fma_f32 v21, v21, v105, v106
	v_cvt_f16_f32_e32 v105, v105
	v_mul_u32_u24_sdwa v105, v105, v101 dst_sel:DWORD dst_unused:UNUSED_PAD src0_sel:WORD_0 src1_sel:DWORD
	v_pk_mul_f16 v110, v103, v105
	v_cvt_f16_f32_e32 v103, v106
	v_pk_mul_f16 v109, v104, v105
	ds_write_b16 v18, v103
	ds_read_u16 v103, v27
	ds_read_u16 v115, v27 offset:16
	ds_read_u16 v108, v27 offset:32
	;; [unrolled: 1-line block ×3, first 2 shown]
	s_waitcnt lgkmcnt(3)
	v_mul_u32_u24_e32 v111, 0x10001, v103
	v_add_co_u32 v103, vcc_lo, v99, s24
	v_add_co_ci_u32_e64 v104, null, 0, v100, vcc_lo
	v_add_co_u32 v106, vcc_lo, v97, s24
	v_add_co_ci_u32_e64 v107, null, 0, v98, vcc_lo
	global_load_ushort v103, v[103:104], off
	s_waitcnt lgkmcnt(2)
	v_mul_u32_u24_e32 v115, 0x10001, v115
	s_waitcnt lgkmcnt(1)
	v_mul_u32_u24_e32 v108, 0x10001, v108
	global_load_dword v104, v[106:107], off offset:2
	s_waitcnt lgkmcnt(0)
	v_mul_u32_u24_e32 v105, 0x10001, v105
	s_waitcnt vmcnt(1)
	v_mul_u32_u24_e32 v103, 0x10001, v103
	s_waitcnt vmcnt(0)
	v_pk_lshrrev_b16 v106, 8, v104 op_sel:[1,0] op_sel_hi:[0,0]
	v_pk_lshrrev_b16 v104, 8, v104 op_sel:[1,1] op_sel_hi:[0,1]
	v_lshrrev_b32_e32 v107, 16, v106
	v_cvt_f16_i16_sdwa v106, sext(v106) dst_sel:DWORD dst_unused:UNUSED_PAD src0_sel:BYTE_0
	v_cvt_f16_i16_sdwa v107, sext(v107) dst_sel:DWORD dst_unused:UNUSED_PAD src0_sel:BYTE_0
	v_pack_b32_f16 v106, v106, v107
	v_lshrrev_b32_e32 v107, 16, v104
	v_cvt_f16_i16_sdwa v104, sext(v104) dst_sel:DWORD dst_unused:UNUSED_PAD src0_sel:BYTE_0
	v_pk_mul_f16 v106, v106, v103
	v_cvt_f16_i16_sdwa v107, sext(v107) dst_sel:DWORD dst_unused:UNUSED_PAD src0_sel:BYTE_0
	v_pk_fma_f16 v116, v106, v111, v109
	v_pack_b32_f16 v104, v104, v107
	v_pk_mul_f16 v103, v104, v103
	v_pk_fma_f16 v117, v103, v111, v110
	ds_read_u16 v111, v28 offset:4
	ds_read_u16 v118, v28 offset:8
	;; [unrolled: 1-line block ×12, first 2 shown]
	s_waitcnt lgkmcnt(11)
	v_mul_u32_u24_e32 v123, 0x10001, v111
	v_add_co_u32 v111, vcc_lo, v95, s24
	v_add_co_ci_u32_e64 v112, null, 0, v96, vcc_lo
	v_add_co_u32 v113, vcc_lo, v93, s24
	v_add_co_ci_u32_e64 v114, null, 0, v94, vcc_lo
	global_load_ushort v111, v[111:112], off
	s_waitcnt lgkmcnt(10)
	v_mul_u32_u24_e32 v118, 0x10001, v118
	s_waitcnt lgkmcnt(0)
	v_mul_u32_u24_e32 v103, 0x10001, v103
	global_load_dword v112, v[113:114], off offset:2
	s_waitcnt vmcnt(1)
	v_mul_u32_u24_e32 v111, 0x10001, v111
	s_waitcnt vmcnt(0)
	v_pk_lshrrev_b16 v113, 8, v112 op_sel:[1,0] op_sel_hi:[0,0]
	v_pk_lshrrev_b16 v112, 8, v112 op_sel:[1,1] op_sel_hi:[0,1]
	v_lshrrev_b32_e32 v114, 16, v113
	v_cvt_f16_i16_sdwa v113, sext(v113) dst_sel:DWORD dst_unused:UNUSED_PAD src0_sel:BYTE_0
	v_cvt_f16_i16_sdwa v114, sext(v114) dst_sel:DWORD dst_unused:UNUSED_PAD src0_sel:BYTE_0
	v_pack_b32_f16 v113, v113, v114
	v_lshrrev_b32_e32 v114, 16, v112
	v_cvt_f16_i16_sdwa v112, sext(v112) dst_sel:DWORD dst_unused:UNUSED_PAD src0_sel:BYTE_0
	v_pk_mul_f16 v113, v113, v111
	v_cvt_f16_i16_sdwa v114, sext(v114) dst_sel:DWORD dst_unused:UNUSED_PAD src0_sel:BYTE_0
	v_pk_fma_f16 v116, v113, v123, v116
	v_pack_b32_f16 v112, v112, v114
	v_pk_mul_f16 v111, v112, v111
	v_pk_fma_f16 v117, v111, v123, v117
	v_add_co_u32 v111, vcc_lo, v91, s24
	v_add_co_ci_u32_e64 v112, null, 0, v92, vcc_lo
	v_add_co_u32 v113, vcc_lo, v89, s24
	v_add_co_ci_u32_e64 v114, null, 0, v90, vcc_lo
	global_load_ushort v111, v[111:112], off
	global_load_dword v112, v[113:114], off offset:2
	s_waitcnt vmcnt(1)
	v_mul_u32_u24_e32 v111, 0x10001, v111
	s_waitcnt vmcnt(0)
	v_pk_lshrrev_b16 v113, 8, v112 op_sel:[1,0] op_sel_hi:[0,0]
	v_pk_lshrrev_b16 v112, 8, v112 op_sel:[1,1] op_sel_hi:[0,1]
	v_lshrrev_b32_e32 v114, 16, v113
	v_cvt_f16_i16_sdwa v113, sext(v113) dst_sel:DWORD dst_unused:UNUSED_PAD src0_sel:BYTE_0
	v_cvt_f16_i16_sdwa v114, sext(v114) dst_sel:DWORD dst_unused:UNUSED_PAD src0_sel:BYTE_0
	v_pack_b32_f16 v113, v113, v114
	v_lshrrev_b32_e32 v114, 16, v112
	v_cvt_f16_i16_sdwa v112, sext(v112) dst_sel:DWORD dst_unused:UNUSED_PAD src0_sel:BYTE_0
	v_pk_mul_f16 v113, v113, v111
	v_cvt_f16_i16_sdwa v114, sext(v114) dst_sel:DWORD dst_unused:UNUSED_PAD src0_sel:BYTE_0
	v_pk_fma_f16 v116, v113, v118, v116
	v_pack_b32_f16 v112, v112, v114
	v_pk_mul_f16 v111, v112, v111
	v_pk_fma_f16 v117, v111, v118, v117
	v_add_co_u32 v111, vcc_lo, v87, s24
	v_add_co_ci_u32_e64 v112, null, 0, v88, vcc_lo
	v_add_co_u32 v113, vcc_lo, v85, s24
	v_add_co_ci_u32_e64 v114, null, 0, v86, vcc_lo
	global_load_ushort v111, v[111:112], off
	v_mul_u32_u24_e32 v118, 0x10001, v119
	global_load_dword v112, v[113:114], off offset:2
	s_waitcnt vmcnt(1)
	v_mul_u32_u24_e32 v111, 0x10001, v111
	s_waitcnt vmcnt(0)
	v_pk_lshrrev_b16 v113, 8, v112 op_sel:[1,0] op_sel_hi:[0,0]
	v_pk_lshrrev_b16 v112, 8, v112 op_sel:[1,1] op_sel_hi:[0,1]
	v_lshrrev_b32_e32 v114, 16, v113
	v_cvt_f16_i16_sdwa v113, sext(v113) dst_sel:DWORD dst_unused:UNUSED_PAD src0_sel:BYTE_0
	v_cvt_f16_i16_sdwa v114, sext(v114) dst_sel:DWORD dst_unused:UNUSED_PAD src0_sel:BYTE_0
	v_pack_b32_f16 v113, v113, v114
	v_lshrrev_b32_e32 v114, 16, v112
	v_cvt_f16_i16_sdwa v112, sext(v112) dst_sel:DWORD dst_unused:UNUSED_PAD src0_sel:BYTE_0
	v_pk_mul_f16 v113, v113, v111
	v_cvt_f16_i16_sdwa v114, sext(v114) dst_sel:DWORD dst_unused:UNUSED_PAD src0_sel:BYTE_0
	v_pk_fma_f16 v116, v113, v118, v116
	v_pack_b32_f16 v112, v112, v114
	v_pk_mul_f16 v111, v112, v111
	v_pk_fma_f16 v117, v111, v118, v117
	v_add_co_u32 v111, vcc_lo, v83, s24
	v_add_co_ci_u32_e64 v112, null, 0, v84, vcc_lo
	v_add_co_u32 v113, vcc_lo, v81, s24
	v_add_co_ci_u32_e64 v114, null, 0, v82, vcc_lo
	global_load_ushort v111, v[111:112], off
	global_load_dword v112, v[113:114], off offset:2
	s_waitcnt vmcnt(1)
	v_mul_u32_u24_e32 v111, 0x10001, v111
	s_waitcnt vmcnt(0)
	v_pk_lshrrev_b16 v113, 8, v112 op_sel:[1,0] op_sel_hi:[0,0]
	v_pk_lshrrev_b16 v112, 8, v112 op_sel:[1,1] op_sel_hi:[0,1]
	v_lshrrev_b32_e32 v114, 16, v113
	v_cvt_f16_i16_sdwa v113, sext(v113) dst_sel:DWORD dst_unused:UNUSED_PAD src0_sel:BYTE_0
	v_cvt_f16_i16_sdwa v114, sext(v114) dst_sel:DWORD dst_unused:UNUSED_PAD src0_sel:BYTE_0
	v_pack_b32_f16 v113, v113, v114
	v_lshrrev_b32_e32 v114, 16, v112
	v_cvt_f16_i16_sdwa v112, sext(v112) dst_sel:DWORD dst_unused:UNUSED_PAD src0_sel:BYTE_0
	v_pk_mul_f16 v113, v113, v111
	v_cvt_f16_i16_sdwa v114, sext(v114) dst_sel:DWORD dst_unused:UNUSED_PAD src0_sel:BYTE_0
	v_pk_fma_f16 v116, v113, v115, v116
	v_pack_b32_f16 v112, v112, v114
	v_pk_mul_f16 v111, v112, v111
	v_pk_fma_f16 v115, v111, v115, v117
	v_add_co_u32 v111, vcc_lo, v79, s24
	v_add_co_ci_u32_e64 v112, null, 0, v80, vcc_lo
	v_add_co_u32 v113, vcc_lo, v77, s24
	v_add_co_ci_u32_e64 v114, null, 0, v78, vcc_lo
	global_load_ushort v111, v[111:112], off
	v_mul_u32_u24_e32 v117, 0x10001, v120
	global_load_dword v112, v[113:114], off offset:2
	s_waitcnt vmcnt(1)
	v_mul_u32_u24_e32 v111, 0x10001, v111
	s_waitcnt vmcnt(0)
	v_pk_lshrrev_b16 v113, 8, v112 op_sel:[1,0] op_sel_hi:[0,0]
	v_pk_lshrrev_b16 v112, 8, v112 op_sel:[1,1] op_sel_hi:[0,1]
	v_lshrrev_b32_e32 v114, 16, v113
	v_cvt_f16_i16_sdwa v113, sext(v113) dst_sel:DWORD dst_unused:UNUSED_PAD src0_sel:BYTE_0
	v_cvt_f16_i16_sdwa v114, sext(v114) dst_sel:DWORD dst_unused:UNUSED_PAD src0_sel:BYTE_0
	v_pack_b32_f16 v113, v113, v114
	v_lshrrev_b32_e32 v114, 16, v112
	v_cvt_f16_i16_sdwa v112, sext(v112) dst_sel:DWORD dst_unused:UNUSED_PAD src0_sel:BYTE_0
	v_pk_mul_f16 v113, v113, v111
	v_cvt_f16_i16_sdwa v114, sext(v114) dst_sel:DWORD dst_unused:UNUSED_PAD src0_sel:BYTE_0
	v_pk_fma_f16 v116, v113, v117, v116
	v_pack_b32_f16 v112, v112, v114
	v_pk_mul_f16 v111, v112, v111
	v_pk_fma_f16 v115, v111, v117, v115
	v_add_co_u32 v111, vcc_lo, v75, s24
	v_add_co_ci_u32_e64 v112, null, 0, v76, vcc_lo
	v_add_co_u32 v113, vcc_lo, v73, s24
	v_add_co_ci_u32_e64 v114, null, 0, v74, vcc_lo
	global_load_ushort v111, v[111:112], off
	v_mul_u32_u24_e32 v117, 0x10001, v121
	;; [unrolled: 24-line block ×3, first 2 shown]
	global_load_dword v112, v[113:114], off offset:2
	s_waitcnt vmcnt(1)
	v_mul_u32_u24_e32 v111, 0x10001, v111
	s_waitcnt vmcnt(0)
	v_pk_lshrrev_b16 v113, 8, v112 op_sel:[1,0] op_sel_hi:[0,0]
	v_pk_lshrrev_b16 v112, 8, v112 op_sel:[1,1] op_sel_hi:[0,1]
	v_lshrrev_b32_e32 v114, 16, v113
	v_cvt_f16_i16_sdwa v113, sext(v113) dst_sel:DWORD dst_unused:UNUSED_PAD src0_sel:BYTE_0
	v_cvt_f16_i16_sdwa v114, sext(v114) dst_sel:DWORD dst_unused:UNUSED_PAD src0_sel:BYTE_0
	v_pack_b32_f16 v113, v113, v114
	v_lshrrev_b32_e32 v114, 16, v112
	v_cvt_f16_i16_sdwa v112, sext(v112) dst_sel:DWORD dst_unused:UNUSED_PAD src0_sel:BYTE_0
	v_pk_mul_f16 v113, v113, v111
	v_cvt_f16_i16_sdwa v114, sext(v114) dst_sel:DWORD dst_unused:UNUSED_PAD src0_sel:BYTE_0
	v_pk_fma_f16 v116, v113, v117, v116
	v_pack_b32_f16 v112, v112, v114
	v_pk_mul_f16 v111, v112, v111
	v_pk_fma_f16 v115, v111, v117, v115
	v_add_co_u32 v111, vcc_lo, v67, s24
	v_add_co_ci_u32_e64 v112, null, 0, v68, vcc_lo
	v_add_co_u32 v113, vcc_lo, v65, s24
	v_add_co_ci_u32_e64 v114, null, 0, v66, vcc_lo
	global_load_ushort v111, v[111:112], off
	global_load_dword v112, v[113:114], off offset:2
	s_waitcnt vmcnt(1)
	v_mul_u32_u24_e32 v111, 0x10001, v111
	s_waitcnt vmcnt(0)
	v_pk_lshrrev_b16 v113, 8, v112 op_sel:[1,0] op_sel_hi:[0,0]
	v_pk_lshrrev_b16 v112, 8, v112 op_sel:[1,1] op_sel_hi:[0,1]
	v_lshrrev_b32_e32 v114, 16, v113
	v_cvt_f16_i16_sdwa v113, sext(v113) dst_sel:DWORD dst_unused:UNUSED_PAD src0_sel:BYTE_0
	v_cvt_f16_i16_sdwa v114, sext(v114) dst_sel:DWORD dst_unused:UNUSED_PAD src0_sel:BYTE_0
	v_pack_b32_f16 v113, v113, v114
	v_lshrrev_b32_e32 v114, 16, v112
	v_cvt_f16_i16_sdwa v112, sext(v112) dst_sel:DWORD dst_unused:UNUSED_PAD src0_sel:BYTE_0
	v_pk_mul_f16 v113, v113, v111
	v_cvt_f16_i16_sdwa v114, sext(v114) dst_sel:DWORD dst_unused:UNUSED_PAD src0_sel:BYTE_0
	v_pack_b32_f16 v112, v112, v114
	v_pk_fma_f16 v114, v113, v108, v116
	v_pk_mul_f16 v111, v112, v111
	v_pk_fma_f16 v108, v111, v108, v115
	v_mul_u32_u24_e32 v115, 0x10001, v110
	v_add_co_u32 v110, vcc_lo, v63, s24
	v_add_co_ci_u32_e64 v111, null, 0, v64, vcc_lo
	v_add_co_u32 v112, vcc_lo, v61, s24
	v_add_co_ci_u32_e64 v113, null, 0, v62, vcc_lo
	global_load_ushort v110, v[110:111], off
	global_load_dword v111, v[112:113], off offset:2
	s_waitcnt vmcnt(1)
	v_mul_u32_u24_e32 v110, 0x10001, v110
	s_waitcnt vmcnt(0)
	v_pk_lshrrev_b16 v112, 8, v111 op_sel:[1,0] op_sel_hi:[0,0]
	v_pk_lshrrev_b16 v111, 8, v111 op_sel:[1,1] op_sel_hi:[0,1]
	v_lshrrev_b32_e32 v113, 16, v112
	v_cvt_f16_i16_sdwa v112, sext(v112) dst_sel:DWORD dst_unused:UNUSED_PAD src0_sel:BYTE_0
	v_cvt_f16_i16_sdwa v113, sext(v113) dst_sel:DWORD dst_unused:UNUSED_PAD src0_sel:BYTE_0
	v_pack_b32_f16 v112, v112, v113
	v_lshrrev_b32_e32 v113, 16, v111
	v_cvt_f16_i16_sdwa v111, sext(v111) dst_sel:DWORD dst_unused:UNUSED_PAD src0_sel:BYTE_0
	v_pk_mul_f16 v112, v112, v110
	v_cvt_f16_i16_sdwa v113, sext(v113) dst_sel:DWORD dst_unused:UNUSED_PAD src0_sel:BYTE_0
	v_pk_fma_f16 v112, v112, v115, v114
	v_pack_b32_f16 v111, v111, v113
	v_mul_u32_u24_e32 v114, 0x10001, v109
	v_pk_mul_f16 v110, v111, v110
	v_pk_fma_f16 v113, v110, v115, v108
	v_add_co_u32 v108, vcc_lo, v59, s24
	v_add_co_ci_u32_e64 v109, null, 0, v60, vcc_lo
	v_add_co_u32 v110, vcc_lo, v57, s24
	v_add_co_ci_u32_e64 v111, null, 0, v58, vcc_lo
	global_load_ushort v108, v[108:109], off
	global_load_dword v109, v[110:111], off offset:2
	s_waitcnt vmcnt(1)
	v_mul_u32_u24_e32 v108, 0x10001, v108
	s_waitcnt vmcnt(0)
	v_pk_lshrrev_b16 v110, 8, v109 op_sel:[1,0] op_sel_hi:[0,0]
	v_pk_lshrrev_b16 v109, 8, v109 op_sel:[1,1] op_sel_hi:[0,1]
	v_lshrrev_b32_e32 v111, 16, v110
	v_cvt_f16_i16_sdwa v110, sext(v110) dst_sel:DWORD dst_unused:UNUSED_PAD src0_sel:BYTE_0
	v_cvt_f16_i16_sdwa v111, sext(v111) dst_sel:DWORD dst_unused:UNUSED_PAD src0_sel:BYTE_0
	v_pack_b32_f16 v110, v110, v111
	v_lshrrev_b32_e32 v111, 16, v109
	v_cvt_f16_i16_sdwa v109, sext(v109) dst_sel:DWORD dst_unused:UNUSED_PAD src0_sel:BYTE_0
	v_pk_mul_f16 v110, v110, v108
	v_cvt_f16_i16_sdwa v111, sext(v111) dst_sel:DWORD dst_unused:UNUSED_PAD src0_sel:BYTE_0
	v_pack_b32_f16 v109, v109, v111
	v_pk_fma_f16 v111, v110, v114, v112
	v_pk_mul_f16 v108, v109, v108
	v_pk_fma_f16 v112, v108, v114, v113
	v_mul_u32_u24_e32 v113, 0x10001, v107
	v_add_co_u32 v107, vcc_lo, v55, s24
	v_add_co_ci_u32_e64 v108, null, 0, v56, vcc_lo
	v_add_co_u32 v109, vcc_lo, v53, s24
	v_add_co_ci_u32_e64 v110, null, 0, v54, vcc_lo
	global_load_ushort v107, v[107:108], off
	global_load_dword v108, v[109:110], off offset:2
	s_waitcnt vmcnt(1)
	v_mul_u32_u24_e32 v107, 0x10001, v107
	s_waitcnt vmcnt(0)
	v_pk_lshrrev_b16 v109, 8, v108 op_sel:[1,0] op_sel_hi:[0,0]
	v_pk_lshrrev_b16 v108, 8, v108 op_sel:[1,1] op_sel_hi:[0,1]
	v_lshrrev_b32_e32 v110, 16, v109
	v_cvt_f16_i16_sdwa v109, sext(v109) dst_sel:DWORD dst_unused:UNUSED_PAD src0_sel:BYTE_0
	v_cvt_f16_i16_sdwa v110, sext(v110) dst_sel:DWORD dst_unused:UNUSED_PAD src0_sel:BYTE_0
	v_pack_b32_f16 v109, v109, v110
	v_lshrrev_b32_e32 v110, 16, v108
	v_cvt_f16_i16_sdwa v108, sext(v108) dst_sel:DWORD dst_unused:UNUSED_PAD src0_sel:BYTE_0
	v_pk_mul_f16 v109, v109, v107
	v_cvt_f16_i16_sdwa v110, sext(v110) dst_sel:DWORD dst_unused:UNUSED_PAD src0_sel:BYTE_0
	v_pk_fma_f16 v111, v109, v113, v111
	v_pack_b32_f16 v108, v108, v110
	v_pk_mul_f16 v107, v108, v107
	v_pk_fma_f16 v112, v107, v113, v112
	v_add_co_u32 v107, vcc_lo, v51, s24
	v_add_co_ci_u32_e64 v108, null, 0, v52, vcc_lo
	v_add_co_u32 v109, vcc_lo, v49, s24
	v_add_co_ci_u32_e64 v110, null, 0, v50, vcc_lo
	global_load_ushort v107, v[107:108], off
	global_load_dword v108, v[109:110], off offset:2
	s_waitcnt vmcnt(1)
	v_mul_u32_u24_e32 v107, 0x10001, v107
	s_waitcnt vmcnt(0)
	v_pk_lshrrev_b16 v109, 8, v108 op_sel:[1,0] op_sel_hi:[0,0]
	v_pk_lshrrev_b16 v108, 8, v108 op_sel:[1,1] op_sel_hi:[0,1]
	v_lshrrev_b32_e32 v110, 16, v109
	v_cvt_f16_i16_sdwa v109, sext(v109) dst_sel:DWORD dst_unused:UNUSED_PAD src0_sel:BYTE_0
	v_cvt_f16_i16_sdwa v110, sext(v110) dst_sel:DWORD dst_unused:UNUSED_PAD src0_sel:BYTE_0
	v_pack_b32_f16 v109, v109, v110
	v_lshrrev_b32_e32 v110, 16, v108
	v_cvt_f16_i16_sdwa v108, sext(v108) dst_sel:DWORD dst_unused:UNUSED_PAD src0_sel:BYTE_0
	v_pk_mul_f16 v109, v109, v107
	v_cvt_f16_i16_sdwa v110, sext(v110) dst_sel:DWORD dst_unused:UNUSED_PAD src0_sel:BYTE_0
	v_pk_fma_f16 v109, v109, v105, v111
	v_pack_b32_f16 v108, v108, v110
	v_mul_u32_u24_e32 v111, 0x10001, v106
	v_pk_mul_f16 v107, v108, v107
	v_pk_fma_f16 v110, v107, v105, v112
	v_add_co_u32 v105, vcc_lo, v47, s24
	v_add_co_ci_u32_e64 v106, null, 0, v48, vcc_lo
	v_add_co_u32 v107, vcc_lo, v45, s24
	v_add_co_ci_u32_e64 v108, null, 0, v46, vcc_lo
	global_load_ushort v105, v[105:106], off
	global_load_dword v106, v[107:108], off offset:2
	s_waitcnt vmcnt(1)
	v_mul_u32_u24_e32 v105, 0x10001, v105
	s_waitcnt vmcnt(0)
	v_pk_lshrrev_b16 v107, 8, v106 op_sel:[1,0] op_sel_hi:[0,0]
	v_pk_lshrrev_b16 v106, 8, v106 op_sel:[1,1] op_sel_hi:[0,1]
	v_lshrrev_b32_e32 v108, 16, v107
	v_cvt_f16_i16_sdwa v107, sext(v107) dst_sel:DWORD dst_unused:UNUSED_PAD src0_sel:BYTE_0
	v_cvt_f16_i16_sdwa v108, sext(v108) dst_sel:DWORD dst_unused:UNUSED_PAD src0_sel:BYTE_0
	v_pack_b32_f16 v107, v107, v108
	v_lshrrev_b32_e32 v108, 16, v106
	v_cvt_f16_i16_sdwa v106, sext(v106) dst_sel:DWORD dst_unused:UNUSED_PAD src0_sel:BYTE_0
	v_pk_mul_f16 v107, v107, v105
	v_cvt_f16_i16_sdwa v108, sext(v108) dst_sel:DWORD dst_unused:UNUSED_PAD src0_sel:BYTE_0
	v_pack_b32_f16 v106, v106, v108
	v_pk_fma_f16 v108, v107, v111, v109
	v_pk_mul_f16 v105, v106, v105
	v_pk_fma_f16 v109, v105, v111, v110
	v_mul_u32_u24_e32 v110, 0x10001, v104
	v_add_co_u32 v104, vcc_lo, v43, s24
	v_add_co_ci_u32_e64 v105, null, 0, v44, vcc_lo
	v_add_co_u32 v106, vcc_lo, v41, s24
	v_add_co_ci_u32_e64 v107, null, 0, v42, vcc_lo
	global_load_ushort v104, v[104:105], off
	global_load_dword v105, v[106:107], off offset:2
	s_waitcnt vmcnt(1)
	v_mul_u32_u24_e32 v104, 0x10001, v104
	s_waitcnt vmcnt(0)
	v_pk_lshrrev_b16 v106, 8, v105 op_sel:[1,0] op_sel_hi:[0,0]
	v_pk_lshrrev_b16 v105, 8, v105 op_sel:[1,1] op_sel_hi:[0,1]
	v_lshrrev_b32_e32 v107, 16, v106
	v_cvt_f16_i16_sdwa v106, sext(v106) dst_sel:DWORD dst_unused:UNUSED_PAD src0_sel:BYTE_0
	v_cvt_f16_i16_sdwa v107, sext(v107) dst_sel:DWORD dst_unused:UNUSED_PAD src0_sel:BYTE_0
	v_pack_b32_f16 v106, v106, v107
	v_lshrrev_b32_e32 v107, 16, v105
	v_cvt_f16_i16_sdwa v105, sext(v105) dst_sel:DWORD dst_unused:UNUSED_PAD src0_sel:BYTE_0
	v_pk_mul_f16 v106, v106, v104
	v_cvt_f16_i16_sdwa v107, sext(v107) dst_sel:DWORD dst_unused:UNUSED_PAD src0_sel:BYTE_0
	v_pack_b32_f16 v105, v105, v107
	v_pk_mul_f16 v105, v105, v104
	v_pk_fma_f16 v104, v106, v110, v108
	v_add_co_u32 v106, vcc_lo, v39, s24
	v_add_co_ci_u32_e64 v107, null, 0, v40, vcc_lo
	v_add_co_u32 v108, vcc_lo, v37, s24
	v_pk_fma_f16 v105, v105, v110, v109
	v_add_co_ci_u32_e64 v109, null, 0, v38, vcc_lo
	global_load_ushort v106, v[106:107], off
	v_add_co_u32 v29, vcc_lo, v29, s9
	global_load_dword v107, v[108:109], off offset:2
	v_add_co_ci_u32_e64 v30, null, 0, v30, vcc_lo
	v_add_co_u32 v31, vcc_lo, v31, s9
	v_add_co_ci_u32_e64 v32, null, 0, v32, vcc_lo
	v_add_co_u32 v33, vcc_lo, v33, s9
	;; [unrolled: 2-line block ×36, first 2 shown]
	v_add_co_ci_u32_e64 v100, null, 0, v100, vcc_lo
	s_waitcnt vmcnt(1)
	v_mul_u32_u24_e32 v106, 0x10001, v106
	s_waitcnt vmcnt(0)
	v_pk_lshrrev_b16 v108, 8, v107 op_sel:[1,0] op_sel_hi:[0,0]
	v_pk_lshrrev_b16 v107, 8, v107 op_sel:[1,1] op_sel_hi:[0,1]
	v_lshrrev_b32_e32 v109, 16, v108
	v_cvt_f16_i16_sdwa v108, sext(v108) dst_sel:DWORD dst_unused:UNUSED_PAD src0_sel:BYTE_0
	v_cvt_f16_i16_sdwa v109, sext(v109) dst_sel:DWORD dst_unused:UNUSED_PAD src0_sel:BYTE_0
	v_pack_b32_f16 v108, v108, v109
	v_lshrrev_b32_e32 v109, 16, v107
	v_cvt_f16_i16_sdwa v107, sext(v107) dst_sel:DWORD dst_unused:UNUSED_PAD src0_sel:BYTE_0
	v_pk_mul_f16 v108, v108, v106
	v_cvt_f16_i16_sdwa v109, sext(v109) dst_sel:DWORD dst_unused:UNUSED_PAD src0_sel:BYTE_0
	v_pk_fma_f16 v104, v108, v103, v104
	v_pack_b32_f16 v107, v107, v109
	v_pk_mul_f16 v106, v107, v106
	v_pk_fma_f16 v103, v106, v103, v105
	s_cbranch_scc1 .LBB0_26
; %bb.24:                               ;   in Loop: Header=BB0_19 Depth=1
	v_mov_b32_e32 v105, v102
	s_branch .LBB0_19
.LBB0_25:
	v_mov_b32_e32 v104, 0
	v_mov_b32_e32 v102, 0xfeffffff
	;; [unrolled: 1-line block ×3, first 2 shown]
.LBB0_26:
	v_or_b32_e32 v2, s7, v1
	s_cmp_lg_u64 s[16:17], 0
	s_cselect_b32 s1, -1, 0
	v_cmp_eq_u32_e32 vcc_lo, 0, v2
	s_and_b32 s2, vcc_lo, s1
	s_and_saveexec_b32 s1, s2
	s_cbranch_execz .LBB0_28
; %bb.27:
	s_lshl_b64 s[2:3], s[30:31], 2
	v_max_f32_e32 v2, v102, v102
	s_add_u32 s2, s16, s2
	s_addc_u32 s3, s17, s3
	s_load_dword s2, s[2:3], 0x0
	s_waitcnt lgkmcnt(0)
	v_max_f32_e64 v3, s2, s2
	v_max_f32_e32 v2, v2, v3
	v_sub_f32_e32 v3, v102, v2
	v_sub_f32_e32 v4, s2, v2
	v_mov_b32_e32 v102, v2
	v_mul_f32_e32 v5, 0x3fb8aa3b, v3
	v_mul_f32_e32 v6, 0x3fb8aa3b, v4
	v_cmp_ngt_f32_e32 vcc_lo, 0xc2ce8ed0, v3
	v_fma_f32 v7, 0x3fb8aa3b, v3, -v5
	v_rndne_f32_e32 v8, v5
	v_fma_f32 v9, 0x3fb8aa3b, v4, -v6
	v_rndne_f32_e32 v10, v6
	v_fmac_f32_e32 v7, 0x32a5705f, v3
	v_sub_f32_e32 v5, v5, v8
	v_fmac_f32_e32 v9, 0x32a5705f, v4
	v_sub_f32_e32 v6, v6, v10
	v_add_f32_e32 v5, v5, v7
	v_cvt_i32_f32_e32 v7, v8
	v_add_f32_e32 v6, v6, v9
	v_cvt_i32_f32_e32 v8, v10
	v_exp_f32_e32 v5, v5
	v_exp_f32_e32 v6, v6
	v_ldexp_f32 v5, v5, v7
	v_ldexp_f32 v6, v6, v8
	v_cndmask_b32_e32 v5, 0, v5, vcc_lo
	v_cmp_ngt_f32_e32 vcc_lo, 0xc2ce8ed0, v4
	v_cndmask_b32_e32 v6, 0, v6, vcc_lo
	v_cmp_nlt_f32_e32 vcc_lo, 0x42b17218, v3
	v_cndmask_b32_e32 v3, 0x7f800000, v5, vcc_lo
	v_cmp_nlt_f32_e32 vcc_lo, 0x42b17218, v4
	v_mov_b32_e32 v5, 0x10001
	v_cndmask_b32_e32 v4, 0x7f800000, v6, vcc_lo
	v_cmp_eq_u32_e32 vcc_lo, 0, v0
	v_cvt_f16_f32_e32 v6, v3
	v_cndmask_b32_e32 v4, 0, v4, vcc_lo
	v_mul_u32_u24_sdwa v5, v6, v5 dst_sel:DWORD dst_unused:UNUSED_PAD src0_sel:WORD_0 src1_sel:DWORD
	v_fmac_f32_e32 v4, v21, v3
	v_pk_mul_f16 v104, v104, v5
	v_pk_mul_f16 v103, v103, v5
	v_mov_b32_e32 v21, v4
.LBB0_28:
	s_or_b32 exec_lo, exec_lo, s1
	s_and_saveexec_b32 s1, s0
	s_cbranch_execz .LBB0_30
; %bb.29:
	v_mov_b32_e32 v2, 0xfeffffff
	v_mov_b32_e32 v3, 0
	v_add_nc_u32_e32 v4, 0x400, v19
	ds_write2_b32 v4, v2, v3 offset1:32
.LBB0_30:
	s_or_b32 exec_lo, exec_lo, s1
	v_cmp_eq_u32_e32 vcc_lo, 0, v0
	v_lshlrev_b32_e32 v5, 2, v1
	s_waitcnt lgkmcnt(0)
	s_barrier
	buffer_gl0_inv
	s_and_saveexec_b32 s0, vcc_lo
; %bb.31:
	ds_write_b32 v5, v102 offset:1024
; %bb.32:
	s_or_b32 exec_lo, exec_lo, s0
	s_waitcnt lgkmcnt(0)
	s_barrier
	buffer_gl0_inv
	ds_read_b32 v2, v19 offset:1024
	v_xor_b32_e32 v3, 16, v20
	v_xor_b32_e32 v4, 8, v20
	v_lshlrev_b32_e32 v0, 3, v0
	v_mov_b32_e32 v13, 0x10001
	v_cmp_gt_i32_e64 s0, 32, v3
	v_cndmask_b32_e64 v3, v20, v3, s0
	v_cmp_gt_i32_e64 s0, 32, v4
	v_lshlrev_b32_e32 v7, 2, v3
	v_cndmask_b32_e64 v4, v20, v4, s0
	s_waitcnt lgkmcnt(0)
	ds_bpermute_b32 v3, v7, v2
	v_max_f32_e32 v2, v2, v2
	v_lshlrev_b32_e32 v8, 2, v4
	v_xor_b32_e32 v4, 4, v20
	v_cmp_gt_i32_e64 s0, 32, v4
	v_cndmask_b32_e64 v4, v20, v4, s0
	v_lshlrev_b32_e32 v9, 2, v4
	v_xor_b32_e32 v4, 2, v20
	s_waitcnt lgkmcnt(0)
	v_max_f32_e32 v3, v3, v3
	v_cmp_gt_i32_e64 s0, 32, v4
	v_max_f32_e32 v2, v2, v3
	v_cndmask_b32_e64 v4, v20, v4, s0
	ds_bpermute_b32 v3, v8, v2
	v_lshlrev_b32_e32 v6, 2, v4
	v_xor_b32_e32 v4, 1, v20
	v_cmp_gt_i32_e64 s0, 32, v4
	v_cndmask_b32_e64 v4, v20, v4, s0
	s_waitcnt lgkmcnt(0)
	v_max_f32_e32 v3, v3, v3
	v_lshlrev_b32_e32 v4, 2, v4
	v_max_f32_e32 v2, v2, v3
	ds_bpermute_b32 v3, v9, v2
	s_waitcnt lgkmcnt(0)
	v_max_f32_e32 v3, v3, v3
	v_max_f32_e32 v2, v2, v3
	ds_bpermute_b32 v3, v6, v2
	s_waitcnt lgkmcnt(0)
	v_max_f32_e32 v3, v3, v3
	;; [unrolled: 4-line block ×3, first 2 shown]
	v_max_f32_e32 v2, v2, v3
	v_sub_f32_e32 v3, v102, v2
	v_mul_f32_e32 v10, 0x3fb8aa3b, v3
	v_cmp_ngt_f32_e64 s0, 0xc2ce8ed0, v3
	v_fma_f32 v11, 0x3fb8aa3b, v3, -v10
	v_rndne_f32_e32 v12, v10
	v_fmamk_f32 v11, v3, 0x32a5705f, v11
	v_sub_f32_e32 v10, v10, v12
	v_add_f32_e32 v10, v10, v11
	v_cvt_i32_f32_e32 v11, v12
	v_and_b32_e32 v12, 0x380, v0
	v_exp_f32_e32 v10, v10
	v_lshl_add_u32 v1, v1, 8, v12
	v_and_or_b32 v12, 0x78, v0, v1
	v_ldexp_f32 v10, v10, v11
	v_cndmask_b32_e64 v10, 0, v10, s0
	v_cmp_nlt_f32_e64 s0, 0x42b17218, v3
	v_cndmask_b32_e64 v3, 0x7f800000, v10, s0
	v_mul_f32_e32 v10, v21, v3
	ds_bpermute_b32 v10, v7, v10
	s_waitcnt lgkmcnt(0)
	v_fmac_f32_e32 v10, v21, v3
	v_cvt_f16_f32_e32 v3, v3
	ds_bpermute_b32 v11, v8, v10
	v_mul_u32_u24_sdwa v3, v3, v13 dst_sel:DWORD dst_unused:UNUSED_PAD src0_sel:WORD_0 src1_sel:DWORD
	v_pk_mul_f16 v0, v104, v3
	v_pk_mul_f16 v1, v103, v3
	ds_write_b64 v12, v[0:1]
	s_waitcnt lgkmcnt(1)
	v_add_f32_e32 v10, v10, v11
	ds_bpermute_b32 v11, v9, v10
	s_waitcnt lgkmcnt(0)
	v_add_f32_e32 v10, v10, v11
	ds_bpermute_b32 v11, v6, v10
	;; [unrolled: 3-line block ×3, first 2 shown]
	s_waitcnt lgkmcnt(0)
	v_add_f32_e32 v3, v10, v11
	s_and_saveexec_b32 s0, vcc_lo
; %bb.33:
	ds_write_b32 v5, v3 offset:1152
; %bb.34:
	s_or_b32 exec_lo, exec_lo, s0
	s_waitcnt lgkmcnt(0)
	s_barrier
	buffer_gl0_inv
	s_load_dword s1, s[4:5], 0xd4
	s_mul_i32 s0, s33, s28
	s_mov_b32 s2, exec_lo
	s_add_i32 s0, s0, s6
	s_mul_i32 s0, s0, s29
	s_add_i32 s0, s0, s30
	s_waitcnt lgkmcnt(0)
	s_mul_i32 s0, s1, s0
	v_cmpx_gt_u32_e32 64, v17
	s_cbranch_execz .LBB0_36
; %bb.35:
	ds_read_b32 v0, v19 offset:1152
	s_add_i32 s3, s0, s7
	s_cmp_eq_u32 s1, 1
	s_waitcnt lgkmcnt(0)
	ds_bpermute_b32 v1, v7, v0
	ds_read_u16 v3, v18
	ds_read_u16 v5, v18 offset:128
	ds_read_u16 v7, v18 offset:256
	s_waitcnt lgkmcnt(2)
	v_cvt_f32_f16_e32 v3, v3
	v_add_f32_e32 v0, v0, v1
	s_waitcnt lgkmcnt(1)
	v_cvt_f32_f16_e32 v5, v5
	s_waitcnt lgkmcnt(0)
	v_cvt_f32_f16_e32 v7, v7
	v_add_f32_e32 v3, 0, v3
	ds_bpermute_b32 v1, v8, v0
	v_add_f32_e32 v3, v3, v5
	v_add_f32_e32 v3, v3, v7
	s_waitcnt lgkmcnt(0)
	v_add_f32_e32 v0, v0, v1
	ds_bpermute_b32 v1, v9, v0
	s_waitcnt lgkmcnt(0)
	v_add_f32_e32 v0, v0, v1
	ds_read_u16 v1, v18 offset:384
	ds_read_u16 v8, v18 offset:512
	;; [unrolled: 1-line block ×5, first 2 shown]
	ds_bpermute_b32 v6, v6, v0
	s_waitcnt lgkmcnt(4)
	v_cvt_f32_f16_e32 v5, v8
	v_cvt_f32_f16_e32 v1, v1
	s_waitcnt lgkmcnt(0)
	v_add_f32_e32 v0, v0, v6
	v_add_f32_e32 v1, v3, v1
	ds_bpermute_b32 v3, v4, v0
	v_cvt_f32_f16_e32 v4, v9
	v_add_f32_e32 v1, v1, v5
	v_cvt_f32_f16_e32 v5, v10
	v_add_f32_e32 v1, v1, v4
	;; [unrolled: 2-line block ×3, first 2 shown]
	v_add_f32_e32 v4, v1, v4
	s_waitcnt lgkmcnt(0)
	v_add_f32_e32 v3, v0, v3
	v_div_scale_f32 v0, null, v3, v3, v4
	v_div_scale_f32 v6, vcc_lo, v4, v3, v4
	v_rcp_f32_e32 v5, v0
	v_fma_f32 v1, -v0, v5, 1.0
	v_fmac_f32_e32 v5, v1, v5
	v_mul_f32_e32 v7, v6, v5
	v_fma_f32 v1, -v0, v7, v6
	v_fmac_f32_e32 v7, v1, v5
	v_mov_b32_e32 v1, 0
	v_fma_f32 v6, -v0, v7, v6
	v_lshl_or_b32 v0, s3, 6, v17
	v_div_fmas_f32 v5, v6, v5, v7
	v_lshlrev_b64 v[0:1], 2, v[0:1]
	v_div_fixup_f32 v5, v5, v3, v4
	v_add_co_u32 v0, vcc_lo, s20, v0
	v_add_co_ci_u32_e64 v1, null, s21, v1, vcc_lo
	s_cselect_b32 vcc_lo, -1, 0
	v_cndmask_b32_e32 v4, v4, v5, vcc_lo
	global_store_dword v[0:1], v4, off
.LBB0_36:
	s_or_b32 exec_lo, exec_lo, s2
	v_cmp_eq_u32_e32 vcc_lo, 0, v17
	s_cmp_lg_u32 s1, 1
	s_mov_b32 s1, 0
	s_cselect_b32 s2, -1, 0
	s_and_b32 s2, vcc_lo, s2
	s_and_saveexec_b32 s3, s2
	s_cbranch_execz .LBB0_38
; %bb.37:
	s_add_i32 s0, s0, s7
	v_mov_b32_e32 v0, 0
	s_lshl_b64 s[0:1], s[0:1], 3
	s_add_u32 s0, s22, s0
	s_addc_u32 s1, s23, s1
	global_store_dwordx2 v0, v[2:3], s[0:1]
.LBB0_38:
	s_endpgm
	.section	.rodata,"a",@progbits
	.p2align	6, 0x0
	.amdhsa_kernel _ZL18flash_attn_ext_vecILi64ELi1EL9ggml_type2ELS0_8ELb0EEvPKcS2_S2_S2_S2_PKiPfP15HIP_vector_typeIfLj2EEffffjfiS6_IjLj3EEiiiiiiiiiiiliiliiiiil
		.amdhsa_group_segment_fixed_size 1280
		.amdhsa_private_segment_fixed_size 0
		.amdhsa_kernarg_size 464
		.amdhsa_user_sgpr_count 6
		.amdhsa_user_sgpr_private_segment_buffer 1
		.amdhsa_user_sgpr_dispatch_ptr 0
		.amdhsa_user_sgpr_queue_ptr 0
		.amdhsa_user_sgpr_kernarg_segment_ptr 1
		.amdhsa_user_sgpr_dispatch_id 0
		.amdhsa_user_sgpr_flat_scratch_init 0
		.amdhsa_user_sgpr_private_segment_size 0
		.amdhsa_wavefront_size32 1
		.amdhsa_uses_dynamic_stack 0
		.amdhsa_system_sgpr_private_segment_wavefront_offset 0
		.amdhsa_system_sgpr_workgroup_id_x 1
		.amdhsa_system_sgpr_workgroup_id_y 1
		.amdhsa_system_sgpr_workgroup_id_z 1
		.amdhsa_system_sgpr_workgroup_info 0
		.amdhsa_system_vgpr_workitem_id 1
		.amdhsa_next_free_vgpr 124
		.amdhsa_next_free_sgpr 50
		.amdhsa_reserve_vcc 1
		.amdhsa_reserve_flat_scratch 0
		.amdhsa_float_round_mode_32 0
		.amdhsa_float_round_mode_16_64 0
		.amdhsa_float_denorm_mode_32 3
		.amdhsa_float_denorm_mode_16_64 3
		.amdhsa_dx10_clamp 1
		.amdhsa_ieee_mode 1
		.amdhsa_fp16_overflow 0
		.amdhsa_workgroup_processor_mode 1
		.amdhsa_memory_ordered 1
		.amdhsa_forward_progress 1
		.amdhsa_shared_vgpr_count 0
		.amdhsa_exception_fp_ieee_invalid_op 0
		.amdhsa_exception_fp_denorm_src 0
		.amdhsa_exception_fp_ieee_div_zero 0
		.amdhsa_exception_fp_ieee_overflow 0
		.amdhsa_exception_fp_ieee_underflow 0
		.amdhsa_exception_fp_ieee_inexact 0
		.amdhsa_exception_int_div_zero 0
	.end_amdhsa_kernel
	.section	.text._ZL18flash_attn_ext_vecILi64ELi1EL9ggml_type2ELS0_8ELb0EEvPKcS2_S2_S2_S2_PKiPfP15HIP_vector_typeIfLj2EEffffjfiS6_IjLj3EEiiiiiiiiiiiliiliiiiil,"axG",@progbits,_ZL18flash_attn_ext_vecILi64ELi1EL9ggml_type2ELS0_8ELb0EEvPKcS2_S2_S2_S2_PKiPfP15HIP_vector_typeIfLj2EEffffjfiS6_IjLj3EEiiiiiiiiiiiliiliiiiil,comdat
.Lfunc_end0:
	.size	_ZL18flash_attn_ext_vecILi64ELi1EL9ggml_type2ELS0_8ELb0EEvPKcS2_S2_S2_S2_PKiPfP15HIP_vector_typeIfLj2EEffffjfiS6_IjLj3EEiiiiiiiiiiiliiliiiiil, .Lfunc_end0-_ZL18flash_attn_ext_vecILi64ELi1EL9ggml_type2ELS0_8ELb0EEvPKcS2_S2_S2_S2_PKiPfP15HIP_vector_typeIfLj2EEffffjfiS6_IjLj3EEiiiiiiiiiiiliiliiiiil
                                        ; -- End function
	.set _ZL18flash_attn_ext_vecILi64ELi1EL9ggml_type2ELS0_8ELb0EEvPKcS2_S2_S2_S2_PKiPfP15HIP_vector_typeIfLj2EEffffjfiS6_IjLj3EEiiiiiiiiiiiliiliiiiil.num_vgpr, 124
	.set _ZL18flash_attn_ext_vecILi64ELi1EL9ggml_type2ELS0_8ELb0EEvPKcS2_S2_S2_S2_PKiPfP15HIP_vector_typeIfLj2EEffffjfiS6_IjLj3EEiiiiiiiiiiiliiliiiiil.num_agpr, 0
	.set _ZL18flash_attn_ext_vecILi64ELi1EL9ggml_type2ELS0_8ELb0EEvPKcS2_S2_S2_S2_PKiPfP15HIP_vector_typeIfLj2EEffffjfiS6_IjLj3EEiiiiiiiiiiiliiliiiiil.numbered_sgpr, 50
	.set _ZL18flash_attn_ext_vecILi64ELi1EL9ggml_type2ELS0_8ELb0EEvPKcS2_S2_S2_S2_PKiPfP15HIP_vector_typeIfLj2EEffffjfiS6_IjLj3EEiiiiiiiiiiiliiliiiiil.num_named_barrier, 0
	.set _ZL18flash_attn_ext_vecILi64ELi1EL9ggml_type2ELS0_8ELb0EEvPKcS2_S2_S2_S2_PKiPfP15HIP_vector_typeIfLj2EEffffjfiS6_IjLj3EEiiiiiiiiiiiliiliiiiil.private_seg_size, 0
	.set _ZL18flash_attn_ext_vecILi64ELi1EL9ggml_type2ELS0_8ELb0EEvPKcS2_S2_S2_S2_PKiPfP15HIP_vector_typeIfLj2EEffffjfiS6_IjLj3EEiiiiiiiiiiiliiliiiiil.uses_vcc, 1
	.set _ZL18flash_attn_ext_vecILi64ELi1EL9ggml_type2ELS0_8ELb0EEvPKcS2_S2_S2_S2_PKiPfP15HIP_vector_typeIfLj2EEffffjfiS6_IjLj3EEiiiiiiiiiiiliiliiiiil.uses_flat_scratch, 0
	.set _ZL18flash_attn_ext_vecILi64ELi1EL9ggml_type2ELS0_8ELb0EEvPKcS2_S2_S2_S2_PKiPfP15HIP_vector_typeIfLj2EEffffjfiS6_IjLj3EEiiiiiiiiiiiliiliiiiil.has_dyn_sized_stack, 0
	.set _ZL18flash_attn_ext_vecILi64ELi1EL9ggml_type2ELS0_8ELb0EEvPKcS2_S2_S2_S2_PKiPfP15HIP_vector_typeIfLj2EEffffjfiS6_IjLj3EEiiiiiiiiiiiliiliiiiil.has_recursion, 0
	.set _ZL18flash_attn_ext_vecILi64ELi1EL9ggml_type2ELS0_8ELb0EEvPKcS2_S2_S2_S2_PKiPfP15HIP_vector_typeIfLj2EEffffjfiS6_IjLj3EEiiiiiiiiiiiliiliiiiil.has_indirect_call, 0
	.section	.AMDGPU.csdata,"",@progbits
; Kernel info:
; codeLenInByte = 10880
; TotalNumSgprs: 52
; NumVgprs: 124
; ScratchSize: 0
; MemoryBound: 0
; FloatMode: 240
; IeeeMode: 1
; LDSByteSize: 1280 bytes/workgroup (compile time only)
; SGPRBlocks: 0
; VGPRBlocks: 15
; NumSGPRsForWavesPerEU: 52
; NumVGPRsForWavesPerEU: 124
; Occupancy: 8
; WaveLimiterHint : 0
; COMPUTE_PGM_RSRC2:SCRATCH_EN: 0
; COMPUTE_PGM_RSRC2:USER_SGPR: 6
; COMPUTE_PGM_RSRC2:TRAP_HANDLER: 0
; COMPUTE_PGM_RSRC2:TGID_X_EN: 1
; COMPUTE_PGM_RSRC2:TGID_Y_EN: 1
; COMPUTE_PGM_RSRC2:TGID_Z_EN: 1
; COMPUTE_PGM_RSRC2:TIDIG_COMP_CNT: 1
	.section	.text._ZL25flash_attn_mask_to_KV_maxILi1EEvPK7__half2Piiii,"axG",@progbits,_ZL25flash_attn_mask_to_KV_maxILi1EEvPK7__half2Piiii,comdat
	.globl	_ZL25flash_attn_mask_to_KV_maxILi1EEvPK7__half2Piiii ; -- Begin function _ZL25flash_attn_mask_to_KV_maxILi1EEvPK7__half2Piiii
	.p2align	8
	.type	_ZL25flash_attn_mask_to_KV_maxILi1EEvPK7__half2Piiii,@function
_ZL25flash_attn_mask_to_KV_maxILi1EEvPK7__half2Piiii: ; @_ZL25flash_attn_mask_to_KV_maxILi1EEvPK7__half2Piiii
; %bb.0:
	s_load_dwordx4 s[8:11], s[4:5], 0x0
	s_mov_b32 s0, exec_lo
	v_cmpx_gt_u32_e32 32, v0
; %bb.1:
	v_lshlrev_b32_e32 v1, 2, v0
	v_mov_b32_e32 v2, 1
	ds_write_b32 v1, v2
; %bb.2:
	s_or_b32 exec_lo, exec_lo, s0
	s_clause 0x1
	s_load_dwordx4 s[12:15], s[4:5], 0x10
	s_load_dword s1, s[4:5], 0x20
	v_and_b32_e32 v1, 31, v0
	v_lshrrev_b32_e32 v3, 3, v0
	v_mov_b32_e32 v2, 0
	v_mov_b32_e32 v4, 0x204
	s_waitcnt lgkmcnt(0)
	v_lshlrev_b32_e32 v5, 2, v1
	s_barrier
	buffer_gl0_inv
	s_mul_i32 s0, s14, s7
	s_mul_i32 s2, s13, s6
	s_add_i32 s2, s0, s2
	v_cmp_eq_u32_e64 s0, 0, v1
	s_ashr_i32 s3, s2, 31
	s_lshl_b64 s[4:5], s[2:3], 2
	s_add_u32 s3, s8, s4
	s_addc_u32 s4, s9, s5
	s_lshl_b32 s5, s12, 8
	s_branch .LBB1_4
	.p2align	6
.LBB1_3:                                ;   in Loop: Header=BB1_4 Depth=1
	s_or_b32 exec_lo, exec_lo, s9
	s_waitcnt lgkmcnt(0)
	s_barrier
	buffer_gl0_inv
	ds_read_b32 v1, v5
	s_waitcnt lgkmcnt(0)
	s_barrier
	buffer_gl0_inv
	v_cmp_ne_u32_e32 vcc_lo, 0, v1
	s_cmp_lg_u32 vcc_lo, exec_lo
	s_cselect_b32 s8, -1, 0
	s_and_b32 vcc_lo, exec_lo, s8
	s_cbranch_vccnz .LBB1_8
.LBB1_4:                                ; =>This Inner Loop Header: Depth=1
	s_mov_b32 s2, s5
	s_addk_i32 s5, 0xff00
	s_cmp_lt_i32 s5, 0
	s_cbranch_scc1 .LBB1_7
; %bb.5:                                ;   in Loop: Header=BB1_4 Depth=1
	s_lshr_b32 s9, s5, 1
	s_mov_b32 s8, exec_lo
	v_add_nc_u32_e32 v1, s9, v0
	v_lshlrev_b64 v[6:7], 2, v[1:2]
	v_add_co_u32 v6, vcc_lo, s3, v6
	v_add_co_ci_u32_e64 v7, null, s4, v7, vcc_lo
	global_load_dword v1, v[6:7], off
	s_waitcnt vmcnt(0)
	v_cmp_class_f16_e64 s9, v1, 0x204
	v_cmp_class_f16_sdwa s12, v1, v4 src0_sel:WORD_1 src1_sel:DWORD
	s_and_b32 s9, s9, s12
	v_cndmask_b32_e64 v1, 0, 1, s9
	v_cmp_ne_u32_e32 vcc_lo, 0, v1
	s_and_saveexec_b32 s9, s0
	s_cbranch_execz .LBB1_3
; %bb.6:                                ;   in Loop: Header=BB1_4 Depth=1
	s_cmp_eq_u32 vcc_lo, s8
	s_cselect_b32 s8, -1, 0
	v_cndmask_b32_e64 v1, 0, 1, s8
	ds_write_b32 v3, v1
	s_branch .LBB1_3
.LBB1_7:                                ;   in Loop: Header=BB1_4 Depth=1
	s_cbranch_execz .LBB1_4
.LBB1_8:
	s_mov_b32 s0, exec_lo
	v_cmpx_eq_u32_e32 0, v0
	s_cbranch_execz .LBB1_10
; %bb.9:
	s_mul_i32 s0, s1, s7
	v_mov_b32_e32 v0, 0
	s_add_i32 s0, s0, s6
	v_mov_b32_e32 v1, s2
	s_ashr_i32 s1, s0, 31
	s_lshl_b64 s[0:1], s[0:1], 2
	s_add_u32 s0, s10, s0
	s_addc_u32 s1, s11, s1
	global_store_dword v0, v1, s[0:1]
.LBB1_10:
	s_endpgm
	.section	.rodata,"a",@progbits
	.p2align	6, 0x0
	.amdhsa_kernel _ZL25flash_attn_mask_to_KV_maxILi1EEvPK7__half2Piiii
		.amdhsa_group_segment_fixed_size 128
		.amdhsa_private_segment_fixed_size 0
		.amdhsa_kernarg_size 288
		.amdhsa_user_sgpr_count 6
		.amdhsa_user_sgpr_private_segment_buffer 1
		.amdhsa_user_sgpr_dispatch_ptr 0
		.amdhsa_user_sgpr_queue_ptr 0
		.amdhsa_user_sgpr_kernarg_segment_ptr 1
		.amdhsa_user_sgpr_dispatch_id 0
		.amdhsa_user_sgpr_flat_scratch_init 0
		.amdhsa_user_sgpr_private_segment_size 0
		.amdhsa_wavefront_size32 1
		.amdhsa_uses_dynamic_stack 0
		.amdhsa_system_sgpr_private_segment_wavefront_offset 0
		.amdhsa_system_sgpr_workgroup_id_x 1
		.amdhsa_system_sgpr_workgroup_id_y 1
		.amdhsa_system_sgpr_workgroup_id_z 0
		.amdhsa_system_sgpr_workgroup_info 0
		.amdhsa_system_vgpr_workitem_id 0
		.amdhsa_next_free_vgpr 8
		.amdhsa_next_free_sgpr 16
		.amdhsa_reserve_vcc 1
		.amdhsa_reserve_flat_scratch 0
		.amdhsa_float_round_mode_32 0
		.amdhsa_float_round_mode_16_64 0
		.amdhsa_float_denorm_mode_32 3
		.amdhsa_float_denorm_mode_16_64 3
		.amdhsa_dx10_clamp 1
		.amdhsa_ieee_mode 1
		.amdhsa_fp16_overflow 0
		.amdhsa_workgroup_processor_mode 1
		.amdhsa_memory_ordered 1
		.amdhsa_forward_progress 1
		.amdhsa_shared_vgpr_count 0
		.amdhsa_exception_fp_ieee_invalid_op 0
		.amdhsa_exception_fp_denorm_src 0
		.amdhsa_exception_fp_ieee_div_zero 0
		.amdhsa_exception_fp_ieee_overflow 0
		.amdhsa_exception_fp_ieee_underflow 0
		.amdhsa_exception_fp_ieee_inexact 0
		.amdhsa_exception_int_div_zero 0
	.end_amdhsa_kernel
	.section	.text._ZL25flash_attn_mask_to_KV_maxILi1EEvPK7__half2Piiii,"axG",@progbits,_ZL25flash_attn_mask_to_KV_maxILi1EEvPK7__half2Piiii,comdat
.Lfunc_end1:
	.size	_ZL25flash_attn_mask_to_KV_maxILi1EEvPK7__half2Piiii, .Lfunc_end1-_ZL25flash_attn_mask_to_KV_maxILi1EEvPK7__half2Piiii
                                        ; -- End function
	.set _ZL25flash_attn_mask_to_KV_maxILi1EEvPK7__half2Piiii.num_vgpr, 8
	.set _ZL25flash_attn_mask_to_KV_maxILi1EEvPK7__half2Piiii.num_agpr, 0
	.set _ZL25flash_attn_mask_to_KV_maxILi1EEvPK7__half2Piiii.numbered_sgpr, 16
	.set _ZL25flash_attn_mask_to_KV_maxILi1EEvPK7__half2Piiii.num_named_barrier, 0
	.set _ZL25flash_attn_mask_to_KV_maxILi1EEvPK7__half2Piiii.private_seg_size, 0
	.set _ZL25flash_attn_mask_to_KV_maxILi1EEvPK7__half2Piiii.uses_vcc, 1
	.set _ZL25flash_attn_mask_to_KV_maxILi1EEvPK7__half2Piiii.uses_flat_scratch, 0
	.set _ZL25flash_attn_mask_to_KV_maxILi1EEvPK7__half2Piiii.has_dyn_sized_stack, 0
	.set _ZL25flash_attn_mask_to_KV_maxILi1EEvPK7__half2Piiii.has_recursion, 0
	.set _ZL25flash_attn_mask_to_KV_maxILi1EEvPK7__half2Piiii.has_indirect_call, 0
	.section	.AMDGPU.csdata,"",@progbits
; Kernel info:
; codeLenInByte = 452
; TotalNumSgprs: 18
; NumVgprs: 8
; ScratchSize: 0
; MemoryBound: 0
; FloatMode: 240
; IeeeMode: 1
; LDSByteSize: 128 bytes/workgroup (compile time only)
; SGPRBlocks: 0
; VGPRBlocks: 0
; NumSGPRsForWavesPerEU: 18
; NumVGPRsForWavesPerEU: 8
; Occupancy: 16
; WaveLimiterHint : 0
; COMPUTE_PGM_RSRC2:SCRATCH_EN: 0
; COMPUTE_PGM_RSRC2:USER_SGPR: 6
; COMPUTE_PGM_RSRC2:TRAP_HANDLER: 0
; COMPUTE_PGM_RSRC2:TGID_X_EN: 1
; COMPUTE_PGM_RSRC2:TGID_Y_EN: 1
; COMPUTE_PGM_RSRC2:TGID_Z_EN: 0
; COMPUTE_PGM_RSRC2:TIDIG_COMP_CNT: 0
	.section	.text._ZL33flash_attn_stream_k_fixup_uniformILi64ELi1ELi1EEvPfPK15HIP_vector_typeIfLj2EEiiiiiiS1_IjLj3EES5_S5_,"axG",@progbits,_ZL33flash_attn_stream_k_fixup_uniformILi64ELi1ELi1EEvPfPK15HIP_vector_typeIfLj2EEiiiiiiS1_IjLj3EES5_S5_,comdat
	.globl	_ZL33flash_attn_stream_k_fixup_uniformILi64ELi1ELi1EEvPfPK15HIP_vector_typeIfLj2EEiiiiiiS1_IjLj3EES5_S5_ ; -- Begin function _ZL33flash_attn_stream_k_fixup_uniformILi64ELi1ELi1EEvPfPK15HIP_vector_typeIfLj2EEiiiiiiS1_IjLj3EES5_S5_
	.p2align	8
	.type	_ZL33flash_attn_stream_k_fixup_uniformILi64ELi1ELi1EEvPfPK15HIP_vector_typeIfLj2EEiiiiiiS1_IjLj3EES5_S5_,@function
_ZL33flash_attn_stream_k_fixup_uniformILi64ELi1ELi1EEvPfPK15HIP_vector_typeIfLj2EEiiiiiiS1_IjLj3EES5_S5_: ; @_ZL33flash_attn_stream_k_fixup_uniformILi64ELi1ELi1EEvPfPK15HIP_vector_typeIfLj2EEiiiiiiS1_IjLj3EES5_S5_
; %bb.0:
	s_clause 0x1
	s_load_dwordx8 s[12:19], s[4:5], 0x1c
	s_load_dwordx4 s[0:3], s[4:5], 0x3c
	s_waitcnt lgkmcnt(0)
	s_mul_hi_u32 s9, s15, s6
	s_add_i32 s9, s6, s9
	s_lshr_b32 s9, s9, s16
	s_mul_i32 s10, s9, s17
	s_sub_i32 s16, s6, s10
	s_load_dwordx2 s[10:11], s[4:5], 0x10
	s_mul_hi_u32 s15, s16, s18
	s_add_i32 s15, s16, s15
	s_lshr_b32 s15, s15, s19
	s_mul_i32 s0, s15, s0
	s_sub_i32 s0, s16, s0
	s_mul_hi_u32 s1, s0, s1
	s_add_i32 s1, s0, s1
	s_lshr_b32 s17, s1, s2
	s_mul_i32 s1, s17, s3
	s_sub_i32 s16, s0, s1
	s_add_i32 s16, s16, s7
	s_waitcnt lgkmcnt(0)
	s_cmp_lt_i32 s16, s10
	s_cselect_b32 s0, -1, 0
	s_add_i32 s17, s17, s8
	s_cmp_lt_i32 s17, s13
	s_cselect_b32 s1, -1, 0
	s_and_b32 s0, s0, s1
	s_andn2_b32 vcc_lo, exec_lo, s0
	s_cbranch_vccnz .LBB2_6
; %bb.1:
	s_mul_i32 s9, s9, s10
	s_load_dwordx4 s[0:3], s[4:5], 0x0
	s_mul_i32 s15, s15, s13
	s_add_i32 s4, s16, s9
	s_add_i32 s5, s17, s15
	s_mul_i32 s4, s4, s11
	s_add_i32 s5, s5, s4
	s_mul_i32 s4, s14, s6
	v_lshl_or_b32 v1, s5, 6, v0
	s_add_i32 s6, s7, s8
	s_add_i32 s5, s4, s14
	;; [unrolled: 1-line block ×3, first 2 shown]
	v_ashrrev_i32_e32 v2, 31, v1
	v_lshlrev_b64 v[1:2], 2, v[1:2]
	s_waitcnt lgkmcnt(0)
	v_add_co_u32 v1, vcc_lo, s0, v1
	v_add_co_ci_u32_e64 v2, null, s1, v2, vcc_lo
	s_add_i32 s0, s7, -1
	s_ashr_i32 s1, s0, 31
	global_load_dword v5, v[1:2], off
	s_lshl_b64 s[0:1], s[0:1], 3
	s_add_u32 s0, s2, s0
	s_addc_u32 s1, s3, s1
	s_add_i32 s9, s5, -2
	s_load_dword s8, s[0:1], 0x4
	s_cmp_lt_i32 s9, s4
	s_cbranch_scc1 .LBB2_4
; %bb.2:
	s_load_dword s9, s[0:1], 0x0
	v_lshl_or_b32 v0, s7, 6, v0
	s_lshl_b32 s0, s12, 2
	s_waitcnt lgkmcnt(0)
	v_mov_b32_e32 v6, s8
	s_ashr_i32 s1, s0, 31
	s_lshl_b64 s[0:1], s[0:1], 2
	v_add_nc_u32_e32 v3, 0xffffff80, v0
	s_add_u32 s0, s2, s0
	s_addc_u32 s1, s3, s1
	s_add_i32 s5, s5, -1
	s_add_i32 s6, s6, s12
	v_mov_b32_e32 v0, s9
.LBB2_3:                                ; =>This Inner Loop Header: Depth=1
	v_ashrrev_i32_e32 v4, 31, v3
	s_add_i32 s5, s5, -1
	s_add_i32 s8, s5, s6
	s_ashr_i32 s9, s8, 31
	v_lshlrev_b64 v[7:8], 2, v[3:4]
	s_lshl_b64 s[8:9], s[8:9], 3
	v_subrev_nc_u32_e32 v3, 64, v3
	s_add_u32 s8, s2, s8
	s_addc_u32 s9, s3, s9
	s_cmp_le_i32 s5, s4
	v_add_co_u32 v7, vcc_lo, s0, v7
	v_add_co_ci_u32_e64 v8, null, s1, v8, vcc_lo
	s_load_dwordx2 s[8:9], s[8:9], 0x0
	global_load_dword v4, v[7:8], off
	v_max_f32_e32 v7, v0, v0
	s_waitcnt lgkmcnt(0)
	v_max_f32_e64 v8, s8, s8
	v_max_f32_e32 v7, v7, v8
	v_sub_f32_e32 v8, s8, v7
	v_sub_f32_e32 v0, v0, v7
	v_mul_f32_e32 v9, 0x3fb8aa3b, v8
	v_mul_f32_e32 v12, 0x3fb8aa3b, v0
	v_cmp_ngt_f32_e32 vcc_lo, 0xc2ce8ed0, v8
	v_fma_f32 v10, 0x3fb8aa3b, v8, -v9
	v_rndne_f32_e32 v11, v9
	v_fma_f32 v13, 0x3fb8aa3b, v0, -v12
	v_rndne_f32_e32 v14, v12
	v_fmac_f32_e32 v10, 0x32a5705f, v8
	v_sub_f32_e32 v9, v9, v11
	v_fmac_f32_e32 v13, 0x32a5705f, v0
	v_cvt_i32_f32_e32 v11, v11
	v_add_f32_e32 v9, v9, v10
	v_sub_f32_e32 v10, v12, v14
	v_exp_f32_e32 v9, v9
	v_add_f32_e32 v10, v10, v13
	v_exp_f32_e32 v10, v10
	v_ldexp_f32 v9, v9, v11
	v_cvt_i32_f32_e32 v11, v14
	v_cndmask_b32_e32 v9, 0, v9, vcc_lo
	v_cmp_nlt_f32_e32 vcc_lo, 0x42b17218, v8
	v_ldexp_f32 v10, v10, v11
	v_mov_b32_e32 v11, v6
	v_cndmask_b32_e32 v9, 0x7f800000, v9, vcc_lo
	v_cmp_ngt_f32_e32 vcc_lo, 0xc2ce8ed0, v0
	v_cndmask_b32_e32 v10, 0, v10, vcc_lo
	v_cmp_le_f32_e32 vcc_lo, 0xc1a00000, v8
	v_cndmask_b32_e32 v8, 0, v9, vcc_lo
	v_cmp_nlt_f32_e32 vcc_lo, 0x42b17218, v0
	s_waitcnt vmcnt(1)
	v_mov_b32_e32 v9, v5
	v_cndmask_b32_e32 v5, 0x7f800000, v10, vcc_lo
	v_mul_f32_e32 v10, s9, v8
	v_cmp_le_f32_e32 vcc_lo, 0xc1a00000, v0
	v_mov_b32_e32 v0, v7
	v_mov_b32_e32 v6, v10
	v_cndmask_b32_e32 v12, 0, v5, vcc_lo
	v_fmac_f32_e32 v6, v11, v12
	s_waitcnt vmcnt(0)
	v_mul_f32_e32 v5, v4, v8
	v_fmac_f32_e32 v5, v9, v12
	s_cbranch_scc0 .LBB2_3
	s_branch .LBB2_5
.LBB2_4:
	s_waitcnt lgkmcnt(0)
	v_mov_b32_e32 v6, s8
.LBB2_5:
	s_waitcnt vmcnt(0)
	v_div_scale_f32 v0, null, v6, v6, v5
	v_rcp_f32_e32 v3, v0
	v_fma_f32 v4, -v0, v3, 1.0
	v_fmac_f32_e32 v3, v4, v3
	v_div_scale_f32 v4, vcc_lo, v5, v6, v5
	v_mul_f32_e32 v7, v4, v3
	v_fma_f32 v8, -v0, v7, v4
	v_fmac_f32_e32 v7, v8, v3
	v_fma_f32 v0, -v0, v7, v4
	v_div_fmas_f32 v0, v0, v3, v7
	v_div_fixup_f32 v0, v0, v6, v5
	global_store_dword v[1:2], v0, off
.LBB2_6:
	s_endpgm
	.section	.rodata,"a",@progbits
	.p2align	6, 0x0
	.amdhsa_kernel _ZL33flash_attn_stream_k_fixup_uniformILi64ELi1ELi1EEvPfPK15HIP_vector_typeIfLj2EEiiiiiiS1_IjLj3EES5_S5_
		.amdhsa_group_segment_fixed_size 0
		.amdhsa_private_segment_fixed_size 0
		.amdhsa_kernarg_size 76
		.amdhsa_user_sgpr_count 6
		.amdhsa_user_sgpr_private_segment_buffer 1
		.amdhsa_user_sgpr_dispatch_ptr 0
		.amdhsa_user_sgpr_queue_ptr 0
		.amdhsa_user_sgpr_kernarg_segment_ptr 1
		.amdhsa_user_sgpr_dispatch_id 0
		.amdhsa_user_sgpr_flat_scratch_init 0
		.amdhsa_user_sgpr_private_segment_size 0
		.amdhsa_wavefront_size32 1
		.amdhsa_uses_dynamic_stack 0
		.amdhsa_system_sgpr_private_segment_wavefront_offset 0
		.amdhsa_system_sgpr_workgroup_id_x 1
		.amdhsa_system_sgpr_workgroup_id_y 1
		.amdhsa_system_sgpr_workgroup_id_z 1
		.amdhsa_system_sgpr_workgroup_info 0
		.amdhsa_system_vgpr_workitem_id 0
		.amdhsa_next_free_vgpr 15
		.amdhsa_next_free_sgpr 20
		.amdhsa_reserve_vcc 1
		.amdhsa_reserve_flat_scratch 0
		.amdhsa_float_round_mode_32 0
		.amdhsa_float_round_mode_16_64 0
		.amdhsa_float_denorm_mode_32 3
		.amdhsa_float_denorm_mode_16_64 3
		.amdhsa_dx10_clamp 1
		.amdhsa_ieee_mode 1
		.amdhsa_fp16_overflow 0
		.amdhsa_workgroup_processor_mode 1
		.amdhsa_memory_ordered 1
		.amdhsa_forward_progress 1
		.amdhsa_shared_vgpr_count 0
		.amdhsa_exception_fp_ieee_invalid_op 0
		.amdhsa_exception_fp_denorm_src 0
		.amdhsa_exception_fp_ieee_div_zero 0
		.amdhsa_exception_fp_ieee_overflow 0
		.amdhsa_exception_fp_ieee_underflow 0
		.amdhsa_exception_fp_ieee_inexact 0
		.amdhsa_exception_int_div_zero 0
	.end_amdhsa_kernel
	.section	.text._ZL33flash_attn_stream_k_fixup_uniformILi64ELi1ELi1EEvPfPK15HIP_vector_typeIfLj2EEiiiiiiS1_IjLj3EES5_S5_,"axG",@progbits,_ZL33flash_attn_stream_k_fixup_uniformILi64ELi1ELi1EEvPfPK15HIP_vector_typeIfLj2EEiiiiiiS1_IjLj3EES5_S5_,comdat
.Lfunc_end2:
	.size	_ZL33flash_attn_stream_k_fixup_uniformILi64ELi1ELi1EEvPfPK15HIP_vector_typeIfLj2EEiiiiiiS1_IjLj3EES5_S5_, .Lfunc_end2-_ZL33flash_attn_stream_k_fixup_uniformILi64ELi1ELi1EEvPfPK15HIP_vector_typeIfLj2EEiiiiiiS1_IjLj3EES5_S5_
                                        ; -- End function
	.set _ZL33flash_attn_stream_k_fixup_uniformILi64ELi1ELi1EEvPfPK15HIP_vector_typeIfLj2EEiiiiiiS1_IjLj3EES5_S5_.num_vgpr, 15
	.set _ZL33flash_attn_stream_k_fixup_uniformILi64ELi1ELi1EEvPfPK15HIP_vector_typeIfLj2EEiiiiiiS1_IjLj3EES5_S5_.num_agpr, 0
	.set _ZL33flash_attn_stream_k_fixup_uniformILi64ELi1ELi1EEvPfPK15HIP_vector_typeIfLj2EEiiiiiiS1_IjLj3EES5_S5_.numbered_sgpr, 20
	.set _ZL33flash_attn_stream_k_fixup_uniformILi64ELi1ELi1EEvPfPK15HIP_vector_typeIfLj2EEiiiiiiS1_IjLj3EES5_S5_.num_named_barrier, 0
	.set _ZL33flash_attn_stream_k_fixup_uniformILi64ELi1ELi1EEvPfPK15HIP_vector_typeIfLj2EEiiiiiiS1_IjLj3EES5_S5_.private_seg_size, 0
	.set _ZL33flash_attn_stream_k_fixup_uniformILi64ELi1ELi1EEvPfPK15HIP_vector_typeIfLj2EEiiiiiiS1_IjLj3EES5_S5_.uses_vcc, 1
	.set _ZL33flash_attn_stream_k_fixup_uniformILi64ELi1ELi1EEvPfPK15HIP_vector_typeIfLj2EEiiiiiiS1_IjLj3EES5_S5_.uses_flat_scratch, 0
	.set _ZL33flash_attn_stream_k_fixup_uniformILi64ELi1ELi1EEvPfPK15HIP_vector_typeIfLj2EEiiiiiiS1_IjLj3EES5_S5_.has_dyn_sized_stack, 0
	.set _ZL33flash_attn_stream_k_fixup_uniformILi64ELi1ELi1EEvPfPK15HIP_vector_typeIfLj2EEiiiiiiS1_IjLj3EES5_S5_.has_recursion, 0
	.set _ZL33flash_attn_stream_k_fixup_uniformILi64ELi1ELi1EEvPfPK15HIP_vector_typeIfLj2EEiiiiiiS1_IjLj3EES5_S5_.has_indirect_call, 0
	.section	.AMDGPU.csdata,"",@progbits
; Kernel info:
; codeLenInByte = 772
; TotalNumSgprs: 22
; NumVgprs: 15
; ScratchSize: 0
; MemoryBound: 0
; FloatMode: 240
; IeeeMode: 1
; LDSByteSize: 0 bytes/workgroup (compile time only)
; SGPRBlocks: 0
; VGPRBlocks: 1
; NumSGPRsForWavesPerEU: 22
; NumVGPRsForWavesPerEU: 15
; Occupancy: 16
; WaveLimiterHint : 0
; COMPUTE_PGM_RSRC2:SCRATCH_EN: 0
; COMPUTE_PGM_RSRC2:USER_SGPR: 6
; COMPUTE_PGM_RSRC2:TRAP_HANDLER: 0
; COMPUTE_PGM_RSRC2:TGID_X_EN: 1
; COMPUTE_PGM_RSRC2:TGID_Y_EN: 1
; COMPUTE_PGM_RSRC2:TGID_Z_EN: 1
; COMPUTE_PGM_RSRC2:TIDIG_COMP_CNT: 0
	.section	.text._ZL33flash_attn_stream_k_fixup_generalILi64ELi1ELi1EEvPfPK15HIP_vector_typeIfLj2EEiiiiS1_IjLj3EES5_S5_S5_,"axG",@progbits,_ZL33flash_attn_stream_k_fixup_generalILi64ELi1ELi1EEvPfPK15HIP_vector_typeIfLj2EEiiiiS1_IjLj3EES5_S5_S5_,comdat
	.globl	_ZL33flash_attn_stream_k_fixup_generalILi64ELi1ELi1EEvPfPK15HIP_vector_typeIfLj2EEiiiiS1_IjLj3EES5_S5_S5_ ; -- Begin function _ZL33flash_attn_stream_k_fixup_generalILi64ELi1ELi1EEvPfPK15HIP_vector_typeIfLj2EEiiiiS1_IjLj3EES5_S5_S5_
	.p2align	8
	.type	_ZL33flash_attn_stream_k_fixup_generalILi64ELi1ELi1EEvPfPK15HIP_vector_typeIfLj2EEiiiiS1_IjLj3EES5_S5_S5_,@function
_ZL33flash_attn_stream_k_fixup_generalILi64ELi1ELi1EEvPfPK15HIP_vector_typeIfLj2EEiiiiS1_IjLj3EES5_S5_S5_: ; @_ZL33flash_attn_stream_k_fixup_generalILi64ELi1ELi1EEvPfPK15HIP_vector_typeIfLj2EEiiiiS1_IjLj3EES5_S5_S5_
; %bb.0:
	s_clause 0x1
	s_load_dwordx4 s[0:3], s[4:5], 0x10
	s_load_dword s9, s[4:5], 0x50
	s_mov_b32 s16, 0
	s_waitcnt lgkmcnt(0)
	s_mul_hi_i32 s17, s3, s6
	s_mul_i32 s18, s3, s6
	s_cmp_lg_u64 s[16:17], 0
	s_cbranch_scc0 .LBB3_21
; %bb.1:
	s_add_u32 s10, s9, 0
	s_addc_u32 s11, 0, 0
	s_xor_b64 s[10:11], s[10:11], 0
	v_cvt_f32_u32_e32 v1, s10
	v_cvt_f32_u32_e32 v2, s11
	s_sub_u32 s14, 0, s10
	s_subb_u32 s15, 0, s11
	v_fmamk_f32 v1, v2, 0x4f800000, v1
	v_rcp_f32_e32 v1, v1
	v_mul_f32_e32 v1, 0x5f7ffffc, v1
	v_mul_f32_e32 v2, 0x2f800000, v1
	v_trunc_f32_e32 v2, v2
	v_fmamk_f32 v1, v2, 0xcf800000, v1
	v_cvt_u32_f32_e32 v2, v2
	v_cvt_u32_f32_e32 v1, v1
	v_readfirstlane_b32 s12, v2
	v_readfirstlane_b32 s13, v1
	s_mul_i32 s19, s14, s12
	s_mul_hi_u32 s21, s14, s13
	s_mul_i32 s20, s15, s13
	s_add_i32 s19, s21, s19
	s_mul_i32 s22, s14, s13
	s_add_i32 s19, s19, s20
	s_mul_hi_u32 s21, s13, s22
	s_mul_i32 s24, s13, s19
	s_mul_hi_u32 s23, s12, s22
	s_mul_i32 s20, s12, s22
	s_mul_hi_u32 s22, s13, s19
	s_add_u32 s21, s21, s24
	s_addc_u32 s22, 0, s22
	s_mul_hi_u32 s25, s12, s19
	s_add_u32 s20, s21, s20
	s_mul_i32 s19, s12, s19
	s_addc_u32 s20, s22, s23
	s_addc_u32 s21, s25, 0
	s_add_u32 s19, s20, s19
	s_addc_u32 s20, 0, s21
	s_add_u32 s13, s13, s19
	s_cselect_b32 s19, -1, 0
	s_mul_hi_u32 s21, s14, s13
	s_cmp_lg_u32 s19, 0
	s_mul_i32 s19, s14, s13
	s_addc_u32 s12, s12, s20
	s_mul_i32 s15, s15, s13
	s_mul_i32 s14, s14, s12
	s_mul_hi_u32 s20, s13, s19
	s_add_i32 s14, s21, s14
	s_mul_hi_u32 s21, s12, s19
	s_add_i32 s14, s14, s15
	s_mul_i32 s15, s12, s19
	s_mul_i32 s23, s13, s14
	s_mul_hi_u32 s22, s13, s14
	s_add_u32 s20, s20, s23
	s_addc_u32 s22, 0, s22
	s_mul_hi_u32 s19, s12, s14
	s_add_u32 s15, s20, s15
	s_mul_i32 s14, s12, s14
	s_addc_u32 s15, s22, s21
	s_addc_u32 s19, s19, 0
	s_add_u32 s14, s15, s14
	s_addc_u32 s15, 0, s19
	s_add_u32 s19, s13, s14
	s_cselect_b32 s13, -1, 0
	s_cmp_lg_u32 s13, 0
	s_addc_u32 s20, s12, s15
	s_ashr_i32 s12, s17, 31
	s_add_u32 s14, s18, s12
	s_mov_b32 s13, s12
	s_addc_u32 s15, s17, s12
	s_xor_b64 s[14:15], s[14:15], s[12:13]
	s_mul_i32 s21, s14, s20
	s_mul_hi_u32 s22, s14, s19
	s_mul_hi_u32 s17, s14, s20
	;; [unrolled: 1-line block ×3, first 2 shown]
	s_mul_i32 s19, s15, s19
	s_add_u32 s21, s22, s21
	s_addc_u32 s17, 0, s17
	s_mul_hi_u32 s23, s15, s20
	s_add_u32 s19, s21, s19
	s_mul_i32 s20, s15, s20
	s_addc_u32 s17, s17, s24
	s_addc_u32 s19, s23, 0
	s_add_u32 s17, s17, s20
	s_addc_u32 s19, 0, s19
	s_mul_hi_u32 s20, s10, s17
	s_mul_i32 s21, s10, s19
	s_mul_i32 s22, s11, s17
	s_add_i32 s20, s20, s21
	s_mul_i32 s21, s10, s17
	s_add_i32 s20, s20, s22
	s_sub_i32 s22, s15, s20
	s_sub_u32 s14, s14, s21
	s_cselect_b32 s21, -1, 0
	s_cmp_lg_u32 s21, 0
	s_subb_u32 s22, s22, s11
	s_sub_u32 s23, s14, s10
	s_cselect_b32 s24, -1, 0
	s_cmp_lg_u32 s24, 0
	s_subb_u32 s22, s22, 0
	s_cmp_ge_u32 s22, s11
	s_cselect_b32 s24, -1, 0
	s_cmp_ge_u32 s23, s10
	s_cselect_b32 s23, -1, 0
	s_cmp_eq_u32 s22, s11
	s_cselect_b32 s22, s23, s24
	s_add_u32 s23, s17, 1
	s_addc_u32 s24, s19, 0
	s_add_u32 s25, s17, 2
	s_addc_u32 s26, s19, 0
	s_cmp_lg_u32 s22, 0
	s_cselect_b32 s22, s25, s23
	s_cselect_b32 s23, s26, s24
	s_cmp_lg_u32 s21, 0
	s_subb_u32 s15, s15, s20
	s_cmp_ge_u32 s15, s11
	s_cselect_b32 s20, -1, 0
	s_cmp_ge_u32 s14, s10
	s_cselect_b32 s10, -1, 0
	s_cmp_eq_u32 s15, s11
	s_cselect_b32 s10, s10, s20
	s_cmp_lg_u32 s10, 0
	s_cselect_b32 s11, s23, s19
	s_cselect_b32 s10, s22, s17
	s_xor_b64 s[12:13], s[12:13], 0
	s_xor_b64 s[10:11], s[10:11], s[12:13]
	s_sub_u32 s10, s10, s12
	s_load_dwordx4 s[12:15], s[4:5], 0x44
	s_andn2_b32 vcc_lo, exec_lo, s16
	s_cbranch_vccnz .LBB3_3
.LBB3_2:
	v_cvt_f32_u32_e32 v1, s9
	s_sub_i32 s11, 0, s9
	v_rcp_iflag_f32_e32 v1, v1
	v_mul_f32_e32 v1, 0x4f7ffffe, v1
	v_cvt_u32_f32_e32 v1, v1
	v_readfirstlane_b32 s10, v1
	s_mul_i32 s11, s11, s10
	s_mul_hi_u32 s11, s10, s11
	s_add_i32 s10, s10, s11
	s_mul_hi_u32 s10, s18, s10
	s_mul_i32 s11, s10, s9
	s_waitcnt lgkmcnt(0)
	s_add_i32 s15, s10, 1
	s_sub_i32 s11, s18, s11
	s_sub_i32 s16, s11, s9
	s_cmp_ge_u32 s11, s9
	s_cselect_b32 s10, s15, s10
	s_cselect_b32 s11, s16, s11
	s_add_i32 s15, s10, 1
	s_cmp_ge_u32 s11, s9
	s_cselect_b32 s10, s15, s10
.LBB3_3:
	s_add_i32 s11, s6, 1
	s_mov_b32 s16, 0
	s_mul_hi_i32 s17, s3, s11
	s_mul_i32 s11, s3, s11
	s_cmp_lg_u64 s[16:17], 0
	s_cbranch_scc0 .LBB3_22
; %bb.4:
	s_add_u32 s18, s9, 0
	s_addc_u32 s19, 0, 0
	s_xor_b64 s[18:19], s[18:19], 0
	v_cvt_f32_u32_e32 v1, s18
	v_cvt_f32_u32_e32 v2, s19
	s_sub_u32 s21, 0, s18
	s_subb_u32 s22, 0, s19
	v_fmamk_f32 v1, v2, 0x4f800000, v1
	v_rcp_f32_e32 v1, v1
	v_mul_f32_e32 v1, 0x5f7ffffc, v1
	v_mul_f32_e32 v2, 0x2f800000, v1
	v_trunc_f32_e32 v2, v2
	v_fmamk_f32 v1, v2, 0xcf800000, v1
	v_cvt_u32_f32_e32 v2, v2
	v_cvt_u32_f32_e32 v1, v1
	s_waitcnt lgkmcnt(0)
	v_readfirstlane_b32 s15, v2
	v_readfirstlane_b32 s20, v1
	s_mul_i32 s23, s21, s15
	s_mul_hi_u32 s25, s21, s20
	s_mul_i32 s24, s22, s20
	s_add_i32 s23, s25, s23
	s_mul_i32 s26, s21, s20
	s_add_i32 s23, s23, s24
	s_mul_hi_u32 s25, s20, s26
	s_mul_i32 s28, s20, s23
	s_mul_hi_u32 s27, s15, s26
	s_mul_i32 s24, s15, s26
	s_mul_hi_u32 s26, s20, s23
	s_add_u32 s25, s25, s28
	s_addc_u32 s26, 0, s26
	s_mul_hi_u32 s29, s15, s23
	s_add_u32 s24, s25, s24
	s_mul_i32 s23, s15, s23
	s_addc_u32 s24, s26, s27
	s_addc_u32 s25, s29, 0
	s_add_u32 s23, s24, s23
	s_addc_u32 s24, 0, s25
	s_add_u32 s20, s20, s23
	s_cselect_b32 s23, -1, 0
	s_mul_hi_u32 s25, s21, s20
	s_cmp_lg_u32 s23, 0
	s_mul_i32 s23, s21, s20
	s_addc_u32 s15, s15, s24
	s_mul_i32 s22, s22, s20
	s_mul_i32 s21, s21, s15
	s_mul_hi_u32 s24, s20, s23
	s_add_i32 s21, s25, s21
	s_mul_hi_u32 s25, s15, s23
	s_add_i32 s21, s21, s22
	s_mul_i32 s22, s15, s23
	s_mul_i32 s27, s20, s21
	s_mul_hi_u32 s26, s20, s21
	s_add_u32 s24, s24, s27
	s_addc_u32 s26, 0, s26
	s_mul_hi_u32 s23, s15, s21
	s_add_u32 s22, s24, s22
	s_mul_i32 s21, s15, s21
	s_addc_u32 s22, s26, s25
	s_addc_u32 s23, s23, 0
	s_add_u32 s21, s22, s21
	s_addc_u32 s22, 0, s23
	s_add_u32 s24, s20, s21
	s_cselect_b32 s20, -1, 0
	s_cmp_lg_u32 s20, 0
	s_addc_u32 s15, s15, s22
	s_ashr_i32 s20, s17, 31
	s_add_u32 s22, s11, s20
	s_mov_b32 s21, s20
	s_addc_u32 s23, s17, s20
	s_xor_b64 s[22:23], s[22:23], s[20:21]
	s_mul_i32 s25, s22, s15
	s_mul_hi_u32 s26, s22, s24
	s_mul_hi_u32 s17, s22, s15
	;; [unrolled: 1-line block ×3, first 2 shown]
	s_mul_i32 s24, s23, s24
	s_add_u32 s25, s26, s25
	s_addc_u32 s17, 0, s17
	s_mul_hi_u32 s27, s23, s15
	s_add_u32 s24, s25, s24
	s_mul_i32 s15, s23, s15
	s_addc_u32 s17, s17, s28
	s_addc_u32 s24, s27, 0
	s_add_u32 s15, s17, s15
	s_addc_u32 s17, 0, s24
	s_mul_hi_u32 s24, s18, s15
	s_mul_i32 s25, s18, s17
	s_mul_i32 s26, s19, s15
	s_add_i32 s24, s24, s25
	s_mul_i32 s25, s18, s15
	s_add_i32 s24, s24, s26
	s_sub_i32 s26, s23, s24
	s_sub_u32 s22, s22, s25
	s_cselect_b32 s25, -1, 0
	s_cmp_lg_u32 s25, 0
	s_subb_u32 s26, s26, s19
	s_sub_u32 s27, s22, s18
	s_cselect_b32 s28, -1, 0
	s_cmp_lg_u32 s28, 0
	s_subb_u32 s26, s26, 0
	s_cmp_ge_u32 s26, s19
	s_cselect_b32 s28, -1, 0
	s_cmp_ge_u32 s27, s18
	s_cselect_b32 s27, -1, 0
	s_cmp_eq_u32 s26, s19
	s_cselect_b32 s26, s27, s28
	s_add_u32 s27, s15, 1
	s_addc_u32 s28, s17, 0
	s_add_u32 s29, s15, 2
	s_addc_u32 s30, s17, 0
	s_cmp_lg_u32 s26, 0
	s_cselect_b32 s26, s29, s27
	s_cselect_b32 s27, s30, s28
	s_cmp_lg_u32 s25, 0
	s_subb_u32 s23, s23, s24
	s_cmp_ge_u32 s23, s19
	s_cselect_b32 s24, -1, 0
	s_cmp_ge_u32 s22, s18
	s_cselect_b32 s18, -1, 0
	s_cmp_eq_u32 s23, s19
	s_cselect_b32 s18, s18, s24
	s_cmp_lg_u32 s18, 0
	s_cselect_b32 s19, s27, s17
	s_cselect_b32 s18, s26, s15
	s_xor_b64 s[20:21], s[20:21], 0
	s_xor_b64 s[18:19], s[18:19], s[20:21]
	s_sub_u32 s18, s18, s20
	s_andn2_b32 vcc_lo, exec_lo, s16
	s_cbranch_vccnz .LBB3_6
.LBB3_5:
	v_cvt_f32_u32_e32 v1, s9
	s_sub_i32 s16, 0, s9
	v_rcp_iflag_f32_e32 v1, v1
	v_mul_f32_e32 v1, 0x4f7ffffe, v1
	v_cvt_u32_f32_e32 v1, v1
	s_waitcnt lgkmcnt(0)
	v_readfirstlane_b32 s15, v1
	s_mul_i32 s16, s16, s15
	s_mul_hi_u32 s16, s15, s16
	s_add_i32 s15, s15, s16
	s_mul_hi_u32 s15, s11, s15
	s_mul_i32 s16, s15, s9
	s_sub_i32 s11, s11, s16
	s_add_i32 s16, s15, 1
	s_sub_i32 s17, s11, s9
	s_cmp_ge_u32 s11, s9
	s_cselect_b32 s15, s16, s15
	s_cselect_b32 s11, s17, s11
	s_add_i32 s16, s15, 1
	s_cmp_ge_u32 s11, s9
	s_cselect_b32 s18, s16, s15
.LBB3_6:
	s_cmp_eq_u32 s10, s18
	s_waitcnt lgkmcnt(0)
	s_mul_hi_u32 s11, s10, s12
	s_cselect_b32 s15, -1, 0
	s_add_i32 s11, s11, s10
	s_lshr_b32 s11, s11, s13
	s_mul_i32 s16, s11, s14
	s_cmp_eq_u32 s16, s10
	s_mul_hi_u32 s16, s18, s12
	s_cselect_b32 s17, -1, 0
	s_add_i32 s16, s16, s18
	s_lshr_b32 s16, s16, s13
	s_cmp_eq_u32 s11, s16
	s_mul_i32 s16, s16, s14
	s_cselect_b32 s19, -1, 0
	s_cmp_lg_u32 s16, s18
	s_cselect_b32 s16, -1, 0
	s_or_b32 s15, s15, s17
	s_and_b32 s16, s19, s16
	s_or_b32 s15, s15, s16
	s_and_b32 vcc_lo, exec_lo, s15
	s_cbranch_vccnz .LBB3_24
; %bb.7:
	s_load_dwordx8 s[16:23], s[4:5], 0x20
	s_waitcnt lgkmcnt(0)
	s_mul_hi_u32 s15, s10, s16
	s_load_dword s16, s[4:5], 0x40
	s_add_i32 s15, s15, s10
	s_lshr_b32 s15, s15, s17
	s_mul_i32 s17, s15, s18
	s_sub_i32 s17, s10, s17
	s_mul_hi_u32 s18, s17, s19
	s_add_i32 s18, s17, s18
	s_lshr_b32 s20, s18, s20
	s_mul_i32 s18, s20, s21
	s_sub_i32 s17, s17, s18
	s_mul_hi_u32 s18, s17, s22
	s_add_i32 s18, s17, s18
	s_lshr_b32 s22, s18, s23
	s_waitcnt lgkmcnt(0)
	s_mul_i32 s16, s22, s16
	s_sub_i32 s16, s17, s16
	s_mul_hi_u32 s17, s16, s12
	s_add_i32 s16, s16, s17
	s_lshr_b32 s21, s16, s13
	s_add_i32 s21, s21, s7
	s_cmp_lt_i32 s21, s0
	s_cselect_b32 s16, -1, 0
	s_add_i32 s22, s22, s8
	s_cmp_lt_i32 s22, s2
	s_cselect_b32 s17, -1, 0
	s_and_b32 s16, s16, s17
	s_andn2_b32 vcc_lo, exec_lo, s16
	s_cbranch_vccnz .LBB3_24
; %bb.8:
	s_load_dwordx4 s[16:19], s[4:5], 0x0
	s_mov_b32 s4, 0
	s_lshl_b32 s24, s9, 2
	s_mov_b32 s25, s4
	s_add_i32 s8, s7, s8
	s_lshl_b64 s[24:25], s[24:25], 2
	s_mul_i32 s0, s15, s0
	s_mul_i32 s20, s20, s2
	v_cvt_f32_u32_e32 v3, s9
	v_rcp_iflag_f32_e32 v3, v3
	s_waitcnt lgkmcnt(0)
	s_add_u32 s2, s18, s24
	s_addc_u32 s15, s19, s25
	s_add_i32 s0, s21, s0
	s_add_i32 s5, s22, s20
	s_mul_i32 s0, s0, s1
	v_mul_f32_e32 v3, 0x4f7ffffe, v3
	s_add_i32 s5, s5, s0
	s_add_i32 s0, s8, s6
	v_lshl_or_b32 v1, s5, 6, v0
	s_ashr_i32 s1, s0, 31
	v_cvt_u32_f32_e32 v3, v3
	s_lshl_b64 s[0:1], s[0:1], 3
	v_ashrrev_i32_e32 v2, 31, v1
	s_add_u32 s0, s18, s0
	s_addc_u32 s1, s19, s1
	s_load_dwordx2 s[0:1], s[0:1], 0x0
	v_lshlrev_b64 v[1:2], 2, v[1:2]
	v_add_co_u32 v1, vcc_lo, s16, v1
	v_add_co_ci_u32_e64 v2, null, s17, v2, vcc_lo
	s_add_i32 s17, s6, -1
	s_sub_i32 s16, 0, s9
	global_load_dword v4, v[1:2], off
	s_waitcnt lgkmcnt(0)
	v_mov_b32_e32 v5, s1
	v_mov_b32_e32 v6, s0
.LBB3_9:                                ; =>This Inner Loop Header: Depth=1
	s_mul_hi_i32 s5, s17, s3
	s_mul_i32 s6, s17, s3
	s_cmp_lg_u64 s[4:5], 0
	s_mov_b32 s7, -1
                                        ; implicit-def: $sgpr0_sgpr1
	s_cbranch_scc0 .LBB3_11
; %bb.10:                               ;   in Loop: Header=BB3_9 Depth=1
	s_add_u32 s0, s9, 0
	s_addc_u32 s1, 0, 0
	s_xor_b64 s[0:1], s[0:1], 0
	v_cvt_f32_u32_e32 v7, s0
	v_cvt_f32_u32_e32 v8, s1
	s_sub_u32 s21, 0, s0
	s_subb_u32 s22, 0, s1
	v_fmac_f32_e32 v7, 0x4f800000, v8
	v_rcp_f32_e32 v7, v7
	v_mul_f32_e32 v7, 0x5f7ffffc, v7
	v_mul_f32_e32 v8, 0x2f800000, v7
	v_trunc_f32_e32 v8, v8
	v_fmac_f32_e32 v7, 0xcf800000, v8
	v_cvt_u32_f32_e32 v8, v8
	v_cvt_u32_f32_e32 v7, v7
	v_readfirstlane_b32 s7, v8
	v_readfirstlane_b32 s20, v7
	s_mul_i32 s23, s21, s7
	s_mul_hi_u32 s25, s21, s20
	s_mul_i32 s24, s22, s20
	s_add_i32 s23, s25, s23
	s_mul_i32 s26, s21, s20
	s_add_i32 s23, s23, s24
	s_mul_hi_u32 s25, s20, s26
	s_mul_i32 s28, s20, s23
	s_mul_hi_u32 s27, s7, s26
	s_mul_i32 s24, s7, s26
	s_mul_hi_u32 s26, s20, s23
	s_add_u32 s25, s25, s28
	s_addc_u32 s26, 0, s26
	s_mul_hi_u32 s29, s7, s23
	s_add_u32 s24, s25, s24
	s_mul_i32 s23, s7, s23
	s_addc_u32 s24, s26, s27
	s_addc_u32 s25, s29, 0
	s_add_u32 s23, s24, s23
	s_addc_u32 s24, 0, s25
	s_add_u32 s20, s20, s23
	s_cselect_b32 s23, -1, 0
	s_mul_hi_u32 s25, s21, s20
	s_cmp_lg_u32 s23, 0
	s_mul_i32 s23, s21, s20
	s_addc_u32 s7, s7, s24
	s_mul_i32 s22, s22, s20
	s_mul_i32 s21, s21, s7
	s_mul_hi_u32 s24, s20, s23
	s_add_i32 s21, s25, s21
	s_mul_hi_u32 s25, s7, s23
	s_add_i32 s21, s21, s22
	s_mul_i32 s22, s7, s23
	s_mul_i32 s27, s20, s21
	s_mul_hi_u32 s26, s20, s21
	s_add_u32 s24, s24, s27
	s_addc_u32 s26, 0, s26
	s_mul_hi_u32 s23, s7, s21
	s_add_u32 s22, s24, s22
	s_mul_i32 s21, s7, s21
	s_addc_u32 s22, s26, s25
	s_addc_u32 s23, s23, 0
	s_add_u32 s21, s22, s21
	s_addc_u32 s22, 0, s23
	s_add_u32 s24, s20, s21
	s_cselect_b32 s20, -1, 0
	s_cmp_lg_u32 s20, 0
	s_addc_u32 s7, s7, s22
	s_ashr_i32 s20, s5, 31
	s_add_u32 s22, s6, s20
	s_mov_b32 s21, s20
	s_addc_u32 s23, s5, s20
	s_xor_b64 s[22:23], s[22:23], s[20:21]
	s_mul_i32 s25, s22, s7
	s_mul_hi_u32 s26, s22, s24
	s_mul_hi_u32 s5, s22, s7
	;; [unrolled: 1-line block ×3, first 2 shown]
	s_mul_i32 s24, s23, s24
	s_add_u32 s25, s26, s25
	s_addc_u32 s5, 0, s5
	s_mul_hi_u32 s27, s23, s7
	s_add_u32 s24, s25, s24
	s_mul_i32 s7, s23, s7
	s_addc_u32 s5, s5, s28
	s_addc_u32 s24, s27, 0
	s_add_u32 s5, s5, s7
	s_addc_u32 s7, 0, s24
	s_mul_hi_u32 s24, s0, s5
	s_mul_i32 s25, s0, s7
	s_mul_i32 s26, s1, s5
	s_add_i32 s24, s24, s25
	s_mul_i32 s25, s0, s5
	s_add_i32 s24, s24, s26
	s_sub_i32 s26, s23, s24
	s_sub_u32 s22, s22, s25
	s_cselect_b32 s25, -1, 0
	s_cmp_lg_u32 s25, 0
	s_subb_u32 s26, s26, s1
	s_sub_u32 s27, s22, s0
	s_cselect_b32 s28, -1, 0
	s_cmp_lg_u32 s28, 0
	s_subb_u32 s26, s26, 0
	s_cmp_ge_u32 s26, s1
	s_cselect_b32 s28, -1, 0
	s_cmp_ge_u32 s27, s0
	s_cselect_b32 s27, -1, 0
	s_cmp_eq_u32 s26, s1
	s_cselect_b32 s26, s27, s28
	s_add_u32 s27, s5, 1
	s_addc_u32 s28, s7, 0
	s_add_u32 s29, s5, 2
	s_addc_u32 s30, s7, 0
	s_cmp_lg_u32 s26, 0
	s_cselect_b32 s26, s29, s27
	s_cselect_b32 s27, s30, s28
	s_cmp_lg_u32 s25, 0
	s_subb_u32 s23, s23, s24
	s_cmp_ge_u32 s23, s1
	s_cselect_b32 s24, -1, 0
	s_cmp_ge_u32 s22, s0
	s_cselect_b32 s0, -1, 0
	s_cmp_eq_u32 s23, s1
	s_cselect_b32 s0, s0, s24
	s_cmp_lg_u32 s0, 0
	s_cselect_b32 s1, s27, s7
	s_cselect_b32 s0, s26, s5
	s_xor_b64 s[20:21], s[20:21], 0
	s_mov_b32 s7, 0
	s_xor_b64 s[0:1], s[0:1], s[20:21]
	s_sub_u32 s0, s0, s20
.LBB3_11:                               ;   in Loop: Header=BB3_9 Depth=1
	s_andn2_b32 vcc_lo, exec_lo, s7
	s_cbranch_vccnz .LBB3_13
; %bb.12:                               ;   in Loop: Header=BB3_9 Depth=1
	v_readfirstlane_b32 s0, v3
	s_mul_i32 s1, s16, s0
	s_mul_hi_u32 s1, s0, s1
	s_add_i32 s0, s0, s1
	s_mul_hi_u32 s0, s6, s0
	s_mul_i32 s1, s0, s9
	s_add_i32 s5, s0, 1
	s_sub_i32 s1, s6, s1
	s_sub_i32 s6, s1, s9
	s_cmp_ge_u32 s1, s9
	s_cselect_b32 s0, s5, s0
	s_cselect_b32 s1, s6, s1
	s_add_i32 s5, s0, 1
	s_cmp_ge_u32 s1, s9
	s_cselect_b32 s0, s5, s0
.LBB3_13:                               ;   in Loop: Header=BB3_9 Depth=1
	s_cmp_lg_u32 s10, s0
	s_mov_b32 s6, -1
                                        ; implicit-def: $sgpr5
                                        ; implicit-def: $vgpr8
                                        ; implicit-def: $vgpr7
                                        ; implicit-def: $vgpr9
                                        ; implicit-def: $sgpr1
                                        ; implicit-def: $sgpr20
	s_cbranch_scc0 .LBB3_18
; %bb.14:                               ;   in Loop: Header=BB3_9 Depth=1
	s_add_i32 s21, s17, s8
	s_mov_b32 s7, s4
	s_add_i32 s6, s21, s9
	s_mul_hi_u32 s1, s0, s12
	s_lshl_b64 s[6:7], s[6:7], 3
	s_mov_b32 s20, s10
	s_add_u32 s6, s18, s6
	s_addc_u32 s7, s19, s7
	s_add_i32 s1, s1, s0
	s_lshr_b32 s1, s1, s13
	s_mul_i32 s5, s1, s14
	s_cmp_eq_u32 s5, s0
	s_cselect_b32 s5, -1, 0
	s_cmp_lt_u32 s1, s11
	s_cselect_b32 s1, -1, 0
	s_or_b32 s1, s1, s5
	s_mov_b32 s5, -1
	s_and_b32 vcc_lo, exec_lo, s1
	s_mov_b32 s1, s17
	s_cbranch_vccnz .LBB3_16
; %bb.15:                               ;   in Loop: Header=BB3_9 Depth=1
	s_add_i32 s1, s17, -1
	s_mov_b32 s5, 0
	s_mov_b32 s20, s0
.LBB3_16:                               ;   in Loop: Header=BB3_9 Depth=1
	v_lshl_or_b32 v7, s21, 6, v0
	s_load_dwordx2 s[6:7], s[6:7], 0x0
	v_ashrrev_i32_e32 v8, 31, v7
	v_lshlrev_b64 v[7:8], 2, v[7:8]
	v_add_co_u32 v7, vcc_lo, s2, v7
	v_add_co_ci_u32_e64 v8, null, s15, v8, vcc_lo
	s_waitcnt lgkmcnt(0)
	v_max_f32_e64 v9, s6, s6
	global_load_dword v8, v[7:8], off
	v_max_f32_e32 v7, v6, v6
	v_max_f32_e32 v7, v7, v9
	v_sub_f32_e32 v9, s6, v7
	v_sub_f32_e32 v10, v6, v7
	v_mul_f32_e32 v11, 0x3fb8aa3b, v9
	v_mul_f32_e32 v12, 0x3fb8aa3b, v10
	v_cmp_ngt_f32_e32 vcc_lo, 0xc2ce8ed0, v9
	v_fma_f32 v13, 0x3fb8aa3b, v9, -v11
	v_rndne_f32_e32 v14, v11
	v_fma_f32 v15, 0x3fb8aa3b, v10, -v12
	v_rndne_f32_e32 v16, v12
	v_fmac_f32_e32 v13, 0x32a5705f, v9
	v_sub_f32_e32 v11, v11, v14
	v_fmac_f32_e32 v15, 0x32a5705f, v10
	v_sub_f32_e32 v12, v12, v16
	v_add_f32_e32 v11, v11, v13
	v_cvt_i32_f32_e32 v13, v14
	v_add_f32_e32 v12, v12, v15
	v_cvt_i32_f32_e32 v14, v16
	v_exp_f32_e32 v11, v11
	v_exp_f32_e32 v12, v12
	v_ldexp_f32 v11, v11, v13
	v_ldexp_f32 v12, v12, v14
	v_cndmask_b32_e32 v11, 0, v11, vcc_lo
	v_cmp_ngt_f32_e32 vcc_lo, 0xc2ce8ed0, v10
	v_cndmask_b32_e32 v12, 0, v12, vcc_lo
	v_cmp_nlt_f32_e32 vcc_lo, 0x42b17218, v9
	v_cndmask_b32_e32 v11, 0x7f800000, v11, vcc_lo
	v_cmp_nlt_f32_e32 vcc_lo, 0x42b17218, v10
	v_cndmask_b32_e32 v12, 0x7f800000, v12, vcc_lo
	v_cmp_le_f32_e32 vcc_lo, 0xc1a00000, v9
	v_cndmask_b32_e32 v9, 0, v11, vcc_lo
	v_cmp_le_f32_e32 vcc_lo, 0xc1a00000, v10
	v_cndmask_b32_e32 v10, 0, v12, vcc_lo
	s_waitcnt vmcnt(0)
	v_mul_f32_e32 v8, v8, v9
	v_mul_f32_e32 v9, s7, v9
	v_fmac_f32_e32 v8, v4, v10
	v_fmac_f32_e32 v9, v5, v10
	s_cbranch_execz .LBB3_19
.LBB3_17:                               ;   in Loop: Header=BB3_9 Depth=1
	s_andn2_b32 vcc_lo, exec_lo, s5
	s_cbranch_vccnz .LBB3_20
	s_branch .LBB3_23
.LBB3_18:                               ;   in Loop: Header=BB3_9 Depth=1
	s_andn2_b32 vcc_lo, exec_lo, s6
	s_cbranch_vccnz .LBB3_17
.LBB3_19:                               ;   in Loop: Header=BB3_9 Depth=1
	v_mov_b32_e32 v9, v5
	v_mov_b32_e32 v7, v6
	s_waitcnt vmcnt(0)
	v_mov_b32_e32 v8, v4
	s_add_i32 s1, s17, -1
	s_mov_b32 s20, s10
	s_cbranch_execz .LBB3_23
.LBB3_20:                               ;   in Loop: Header=BB3_9 Depth=1
	v_mov_b32_e32 v5, v9
	v_mov_b32_e32 v6, v7
	s_waitcnt vmcnt(0)
	v_mov_b32_e32 v4, v8
	s_mov_b32 s10, s20
	s_mov_b32 s17, s1
	s_branch .LBB3_9
.LBB3_21:
                                        ; implicit-def: $sgpr10_sgpr11
	s_load_dwordx4 s[12:15], s[4:5], 0x44
	s_branch .LBB3_2
.LBB3_22:
                                        ; implicit-def: $sgpr18_sgpr19
	s_branch .LBB3_5
.LBB3_23:
	v_div_scale_f32 v0, null, v9, v9, v8
	v_rcp_f32_e32 v3, v0
	s_waitcnt vmcnt(0)
	v_fma_f32 v4, -v0, v3, 1.0
	v_fmac_f32_e32 v3, v4, v3
	v_div_scale_f32 v4, vcc_lo, v8, v9, v8
	v_mul_f32_e32 v5, v4, v3
	v_fma_f32 v6, -v0, v5, v4
	v_fmac_f32_e32 v5, v6, v3
	v_fma_f32 v0, -v0, v5, v4
	v_div_fmas_f32 v0, v0, v3, v5
	v_div_fixup_f32 v0, v0, v9, v8
	global_store_dword v[1:2], v0, off
.LBB3_24:
	s_endpgm
	.section	.rodata,"a",@progbits
	.p2align	6, 0x0
	.amdhsa_kernel _ZL33flash_attn_stream_k_fixup_generalILi64ELi1ELi1EEvPfPK15HIP_vector_typeIfLj2EEiiiiS1_IjLj3EES5_S5_S5_
		.amdhsa_group_segment_fixed_size 0
		.amdhsa_private_segment_fixed_size 0
		.amdhsa_kernarg_size 336
		.amdhsa_user_sgpr_count 6
		.amdhsa_user_sgpr_private_segment_buffer 1
		.amdhsa_user_sgpr_dispatch_ptr 0
		.amdhsa_user_sgpr_queue_ptr 0
		.amdhsa_user_sgpr_kernarg_segment_ptr 1
		.amdhsa_user_sgpr_dispatch_id 0
		.amdhsa_user_sgpr_flat_scratch_init 0
		.amdhsa_user_sgpr_private_segment_size 0
		.amdhsa_wavefront_size32 1
		.amdhsa_uses_dynamic_stack 0
		.amdhsa_system_sgpr_private_segment_wavefront_offset 0
		.amdhsa_system_sgpr_workgroup_id_x 1
		.amdhsa_system_sgpr_workgroup_id_y 1
		.amdhsa_system_sgpr_workgroup_id_z 1
		.amdhsa_system_sgpr_workgroup_info 0
		.amdhsa_system_vgpr_workitem_id 0
		.amdhsa_next_free_vgpr 17
		.amdhsa_next_free_sgpr 31
		.amdhsa_reserve_vcc 1
		.amdhsa_reserve_flat_scratch 0
		.amdhsa_float_round_mode_32 0
		.amdhsa_float_round_mode_16_64 0
		.amdhsa_float_denorm_mode_32 3
		.amdhsa_float_denorm_mode_16_64 3
		.amdhsa_dx10_clamp 1
		.amdhsa_ieee_mode 1
		.amdhsa_fp16_overflow 0
		.amdhsa_workgroup_processor_mode 1
		.amdhsa_memory_ordered 1
		.amdhsa_forward_progress 1
		.amdhsa_shared_vgpr_count 0
		.amdhsa_exception_fp_ieee_invalid_op 0
		.amdhsa_exception_fp_denorm_src 0
		.amdhsa_exception_fp_ieee_div_zero 0
		.amdhsa_exception_fp_ieee_overflow 0
		.amdhsa_exception_fp_ieee_underflow 0
		.amdhsa_exception_fp_ieee_inexact 0
		.amdhsa_exception_int_div_zero 0
	.end_amdhsa_kernel
	.section	.text._ZL33flash_attn_stream_k_fixup_generalILi64ELi1ELi1EEvPfPK15HIP_vector_typeIfLj2EEiiiiS1_IjLj3EES5_S5_S5_,"axG",@progbits,_ZL33flash_attn_stream_k_fixup_generalILi64ELi1ELi1EEvPfPK15HIP_vector_typeIfLj2EEiiiiS1_IjLj3EES5_S5_S5_,comdat
.Lfunc_end3:
	.size	_ZL33flash_attn_stream_k_fixup_generalILi64ELi1ELi1EEvPfPK15HIP_vector_typeIfLj2EEiiiiS1_IjLj3EES5_S5_S5_, .Lfunc_end3-_ZL33flash_attn_stream_k_fixup_generalILi64ELi1ELi1EEvPfPK15HIP_vector_typeIfLj2EEiiiiS1_IjLj3EES5_S5_S5_
                                        ; -- End function
	.set _ZL33flash_attn_stream_k_fixup_generalILi64ELi1ELi1EEvPfPK15HIP_vector_typeIfLj2EEiiiiS1_IjLj3EES5_S5_S5_.num_vgpr, 17
	.set _ZL33flash_attn_stream_k_fixup_generalILi64ELi1ELi1EEvPfPK15HIP_vector_typeIfLj2EEiiiiS1_IjLj3EES5_S5_S5_.num_agpr, 0
	.set _ZL33flash_attn_stream_k_fixup_generalILi64ELi1ELi1EEvPfPK15HIP_vector_typeIfLj2EEiiiiS1_IjLj3EES5_S5_S5_.numbered_sgpr, 31
	.set _ZL33flash_attn_stream_k_fixup_generalILi64ELi1ELi1EEvPfPK15HIP_vector_typeIfLj2EEiiiiS1_IjLj3EES5_S5_S5_.num_named_barrier, 0
	.set _ZL33flash_attn_stream_k_fixup_generalILi64ELi1ELi1EEvPfPK15HIP_vector_typeIfLj2EEiiiiS1_IjLj3EES5_S5_S5_.private_seg_size, 0
	.set _ZL33flash_attn_stream_k_fixup_generalILi64ELi1ELi1EEvPfPK15HIP_vector_typeIfLj2EEiiiiS1_IjLj3EES5_S5_S5_.uses_vcc, 1
	.set _ZL33flash_attn_stream_k_fixup_generalILi64ELi1ELi1EEvPfPK15HIP_vector_typeIfLj2EEiiiiS1_IjLj3EES5_S5_S5_.uses_flat_scratch, 0
	.set _ZL33flash_attn_stream_k_fixup_generalILi64ELi1ELi1EEvPfPK15HIP_vector_typeIfLj2EEiiiiS1_IjLj3EES5_S5_S5_.has_dyn_sized_stack, 0
	.set _ZL33flash_attn_stream_k_fixup_generalILi64ELi1ELi1EEvPfPK15HIP_vector_typeIfLj2EEiiiiS1_IjLj3EES5_S5_S5_.has_recursion, 0
	.set _ZL33flash_attn_stream_k_fixup_generalILi64ELi1ELi1EEvPfPK15HIP_vector_typeIfLj2EEiiiiS1_IjLj3EES5_S5_S5_.has_indirect_call, 0
	.section	.AMDGPU.csdata,"",@progbits
; Kernel info:
; codeLenInByte = 2900
; TotalNumSgprs: 33
; NumVgprs: 17
; ScratchSize: 0
; MemoryBound: 0
; FloatMode: 240
; IeeeMode: 1
; LDSByteSize: 0 bytes/workgroup (compile time only)
; SGPRBlocks: 0
; VGPRBlocks: 2
; NumSGPRsForWavesPerEU: 33
; NumVGPRsForWavesPerEU: 17
; Occupancy: 16
; WaveLimiterHint : 0
; COMPUTE_PGM_RSRC2:SCRATCH_EN: 0
; COMPUTE_PGM_RSRC2:USER_SGPR: 6
; COMPUTE_PGM_RSRC2:TRAP_HANDLER: 0
; COMPUTE_PGM_RSRC2:TGID_X_EN: 1
; COMPUTE_PGM_RSRC2:TGID_Y_EN: 1
; COMPUTE_PGM_RSRC2:TGID_Z_EN: 1
; COMPUTE_PGM_RSRC2:TIDIG_COMP_CNT: 0
	.section	.text._ZL26flash_attn_combine_resultsILi64EEvPKfPK15HIP_vector_typeIfLj2EEPfi,"axG",@progbits,_ZL26flash_attn_combine_resultsILi64EEvPKfPK15HIP_vector_typeIfLj2EEPfi,comdat
	.globl	_ZL26flash_attn_combine_resultsILi64EEvPKfPK15HIP_vector_typeIfLj2EEPfi ; -- Begin function _ZL26flash_attn_combine_resultsILi64EEvPKfPK15HIP_vector_typeIfLj2EEPfi
	.p2align	8
	.type	_ZL26flash_attn_combine_resultsILi64EEvPKfPK15HIP_vector_typeIfLj2EEPfi,@function
_ZL26flash_attn_combine_resultsILi64EEvPKfPK15HIP_vector_typeIfLj2EEPfi: ; @_ZL26flash_attn_combine_resultsILi64EEvPKfPK15HIP_vector_typeIfLj2EEPfi
; %bb.0:
	s_clause 0x3
	s_load_dwordx2 s[2:3], s[4:5], 0x20
	s_load_dword s9, s[4:5], 0x18
	s_load_dwordx4 s[12:15], s[4:5], 0x0
	s_load_dwordx2 s[10:11], s[4:5], 0x10
	v_lshlrev_b32_e32 v5, 2, v0
	s_mov_b32 s4, exec_lo
	s_waitcnt lgkmcnt(0)
	s_mul_i32 s0, s2, s8
	s_lshl_b32 s1, s9, 1
	s_add_i32 s0, s0, s6
	s_mul_i32 s6, s0, s3
	s_add_i32 s6, s6, s7
	s_mul_i32 s2, s6, s9
	v_cmpx_gt_i32_e64 s1, v0
	s_cbranch_execz .LBB4_3
; %bb.1:
	s_ashr_i32 s3, s2, 31
	v_add_nc_u32_e32 v3, 0, v5
	s_lshl_b64 s[16:17], s[2:3], 3
	v_mov_b32_e32 v4, v0
	s_add_u32 s0, s14, s16
	s_addc_u32 s3, s15, s17
	v_add_co_u32 v1, s0, s0, v5
	v_add_co_ci_u32_e64 v2, null, s3, 0, s0
	s_mov_b32 s3, 0
	.p2align	6
.LBB4_2:                                ; =>This Inner Loop Header: Depth=1
	global_load_dword v6, v[1:2], off
	v_add_nc_u32_e32 v4, 64, v4
	v_add_co_u32 v1, vcc_lo, 0x100, v1
	v_add_co_ci_u32_e64 v2, null, 0, v2, vcc_lo
	v_cmp_le_i32_e64 s0, s1, v4
	s_or_b32 s3, s0, s3
	s_waitcnt vmcnt(0)
	ds_write_b32 v3, v6
	v_add_nc_u32_e32 v3, 0x100, v3
	s_andn2_b32 exec_lo, exec_lo, s3
	s_cbranch_execnz .LBB4_2
.LBB4_3:
	s_or_b32 exec_lo, exec_lo, s4
	v_mov_b32_e32 v1, 0
	s_waitcnt lgkmcnt(0)
	s_barrier
	buffer_gl0_inv
	s_cmp_lt_i32 s9, 2
	ds_read_b32 v6, v1
	s_cbranch_scc1 .LBB4_11
; %bb.4:
	s_add_i32 s1, s9, -2
	s_add_i32 s0, s9, -1
	s_cmp_lt_u32 s1, 7
	s_cbranch_scc1 .LBB4_8
; %bb.5:
	s_mov_b32 s3, 0
	s_add_i32 s1, 0, 8
	s_and_b32 s4, s0, -8
	.p2align	6
.LBB4_6:                                ; =>This Inner Loop Header: Depth=1
	v_mov_b32_e32 v9, s1
	s_mov_b32 s5, s3
	s_add_i32 s3, s3, 8
	s_add_i32 s1, s1, 64
	s_cmp_eq_u32 s4, s3
	ds_read2_b32 v[1:2], v9 offset1:2
	ds_read2_b32 v[3:4], v9 offset0:4 offset1:6
	ds_read2_b32 v[7:8], v9 offset0:8 offset1:10
	;; [unrolled: 1-line block ×3, first 2 shown]
	s_waitcnt lgkmcnt(3)
	v_max3_f32 v1, v6, v1, v2
	s_waitcnt lgkmcnt(2)
	v_max3_f32 v1, v1, v3, v4
	;; [unrolled: 2-line block ×4, first 2 shown]
	s_cbranch_scc0 .LBB4_6
; %bb.7:
	s_add_i32 s1, s5, 9
	s_and_b32 s0, s0, 7
	s_cmp_eq_u32 s0, 0
	s_cbranch_scc0 .LBB4_9
	s_branch .LBB4_11
.LBB4_8:
	s_mov_b32 s1, 1
	s_and_b32 s0, s0, 7
	s_cmp_eq_u32 s0, 0
	s_cbranch_scc1 .LBB4_11
.LBB4_9:
	s_lshl_b32 s1, s1, 3
	s_add_i32 s1, s1, 0
.LBB4_10:                               ; =>This Inner Loop Header: Depth=1
	v_mov_b32_e32 v1, s1
	s_waitcnt lgkmcnt(0)
	v_max_f32_e32 v2, v6, v6
	s_add_i32 s0, s0, -1
	s_add_i32 s1, s1, 8
	s_cmp_lg_u32 s0, 0
	ds_read_b32 v1, v1
	s_waitcnt lgkmcnt(0)
	v_max_f32_e32 v1, v1, v1
	v_max_f32_e32 v6, v2, v1
	s_cbranch_scc1 .LBB4_10
.LBB4_11:
	s_cmp_lt_i32 s9, 1
	s_cbranch_scc1 .LBB4_16
; %bb.12:
	s_lshl_b32 s0, s2, 6
	s_ashr_i32 s1, s0, 31
	s_lshl_b64 s[0:1], s[0:1], 2
	s_add_u32 s7, s12, s0
	s_addc_u32 s8, s13, s1
	s_cmp_lt_u32 s9, 8
	s_cbranch_scc1 .LBB4_17
; %bb.13:
	v_or_b32_e32 v1, 0x1c0, v0
	v_mov_b32_e32 v4, 0
	v_mov_b32_e32 v7, 0
	;; [unrolled: 1-line block ×3, first 2 shown]
	s_and_b32 s12, s9, 0x7ffffff8
	s_mov_b32 s13, 0
	s_mov_b32 s14, 0
.LBB4_14:                               ; =>This Inner Loop Header: Depth=1
	v_add_nc_u32_e32 v3, 0xfffffe40, v1
	v_mov_b32_e32 v2, v4
	v_mov_b32_e32 v21, s14
	s_add_i32 s13, s13, 8
	s_add_i32 s14, s14, 64
	v_lshlrev_b64 v[9:10], 2, v[3:4]
	v_add_nc_u32_e32 v3, 0xfffffe80, v1
	v_lshlrev_b64 v[11:12], 2, v[1:2]
	s_cmp_eq_u32 s12, s13
	v_lshlrev_b64 v[13:14], 2, v[3:4]
	v_add_nc_u32_e32 v3, 0xfffffec0, v1
	v_add_co_u32 v9, vcc_lo, s7, v9
	v_add_co_ci_u32_e64 v10, null, s8, v10, vcc_lo
	v_add_co_u32 v13, vcc_lo, s7, v13
	v_lshlrev_b64 v[15:16], 2, v[3:4]
	v_add_nc_u32_e32 v3, 0xffffff00, v1
	v_add_co_ci_u32_e64 v14, null, s8, v14, vcc_lo
	s_clause 0x1
	global_load_dword v25, v[9:10], off
	global_load_dword v26, v[13:14], off
	v_lshlrev_b64 v[9:10], 2, v[3:4]
	v_add_nc_u32_e32 v3, 0xffffff40, v1
	v_add_co_u32 v13, vcc_lo, s7, v15
	v_add_co_ci_u32_e64 v14, null, s8, v16, vcc_lo
	v_add_co_u32 v9, vcc_lo, s7, v9
	v_lshlrev_b64 v[15:16], 2, v[3:4]
	v_add_nc_u32_e32 v3, 0xffffff80, v1
	v_add_co_ci_u32_e64 v10, null, s8, v10, vcc_lo
	s_clause 0x1
	global_load_dword v27, v[13:14], off
	global_load_dword v28, v[9:10], off
	v_lshlrev_b64 v[13:14], 2, v[3:4]
	v_subrev_nc_u32_e32 v3, 64, v1
	v_add_co_u32 v9, vcc_lo, s7, v15
	v_add_co_ci_u32_e64 v10, null, s8, v16, vcc_lo
	v_add_co_u32 v13, vcc_lo, s7, v13
	v_lshlrev_b64 v[2:3], 2, v[3:4]
	v_add_co_ci_u32_e64 v14, null, s8, v14, vcc_lo
	s_clause 0x1
	global_load_dword v29, v[9:10], off
	global_load_dword v30, v[13:14], off
	v_add_co_u32 v2, vcc_lo, s7, v2
	v_add_co_ci_u32_e64 v3, null, s8, v3, vcc_lo
	v_add_co_u32 v9, vcc_lo, s7, v11
	v_add_co_ci_u32_e64 v10, null, s8, v12, vcc_lo
	s_clause 0x1
	global_load_dword v2, v[2:3], off
	global_load_dword v3, v[9:10], off
	ds_read2_b64 v[9:12], v21 offset1:1
	ds_read2_b64 v[13:16], v21 offset0:2 offset1:3
	ds_read2_b64 v[17:20], v21 offset0:4 offset1:5
	;; [unrolled: 1-line block ×3, first 2 shown]
	v_add_nc_u32_e32 v1, 0x200, v1
	s_waitcnt lgkmcnt(3)
	v_sub_f32_e32 v9, v9, v6
	v_sub_f32_e32 v11, v11, v6
	s_waitcnt lgkmcnt(2)
	v_sub_f32_e32 v13, v13, v6
	v_sub_f32_e32 v15, v15, v6
	s_waitcnt lgkmcnt(1)
	v_sub_f32_e32 v17, v17, v6
	v_mul_f32_e32 v31, 0x3fb8aa3b, v9
	v_mul_f32_e32 v32, 0x3fb8aa3b, v11
	;; [unrolled: 1-line block ×4, first 2 shown]
	v_sub_f32_e32 v19, v19, v6
	v_fma_f32 v39, 0x3fb8aa3b, v9, -v31
	v_rndne_f32_e32 v40, v31
	v_fma_f32 v41, 0x3fb8aa3b, v11, -v32
	v_rndne_f32_e32 v42, v32
	v_fma_f32 v43, 0x3fb8aa3b, v13, -v33
	v_fmac_f32_e32 v39, 0x32a5705f, v9
	v_sub_f32_e32 v31, v31, v40
	v_rndne_f32_e32 v44, v33
	v_fmac_f32_e32 v41, 0x32a5705f, v11
	v_sub_f32_e32 v32, v32, v42
	v_fmac_f32_e32 v43, 0x32a5705f, v13
	v_add_f32_e32 v31, v31, v39
	v_sub_f32_e32 v33, v33, v44
	v_mul_f32_e32 v35, 0x3fb8aa3b, v17
	v_add_f32_e32 v32, v32, v41
	v_fma_f32 v45, 0x3fb8aa3b, v15, -v34
	v_exp_f32_e32 v31, v31
	v_rndne_f32_e32 v46, v34
	v_add_f32_e32 v33, v33, v43
	v_cvt_i32_f32_e32 v40, v40
	v_exp_f32_e32 v32, v32
	s_waitcnt lgkmcnt(0)
	v_sub_f32_e32 v21, v21, v6
	v_mul_f32_e32 v36, 0x3fb8aa3b, v19
	v_fma_f32 v47, 0x3fb8aa3b, v17, -v35
	v_rndne_f32_e32 v48, v35
	v_cvt_i32_f32_e32 v42, v42
	v_fmac_f32_e32 v45, 0x32a5705f, v15
	v_sub_f32_e32 v34, v34, v46
	v_exp_f32_e32 v33, v33
	v_ldexp_f32 v31, v31, v40
	v_cmp_ngt_f32_e64 s5, 0xc2ce8ed0, v9
	v_sub_f32_e32 v23, v23, v6
	v_mul_f32_e32 v37, 0x3fb8aa3b, v21
	v_fma_f32 v49, 0x3fb8aa3b, v19, -v36
	v_rndne_f32_e32 v50, v36
	v_cvt_i32_f32_e32 v44, v44
	v_fmac_f32_e32 v47, 0x32a5705f, v17
	v_sub_f32_e32 v35, v35, v48
	v_add_f32_e32 v34, v34, v45
	v_ldexp_f32 v32, v32, v42
	v_cndmask_b32_e64 v31, 0, v31, s5
	v_cmp_ngt_f32_e64 s5, 0xc2ce8ed0, v11
	v_mul_f32_e32 v38, 0x3fb8aa3b, v23
	v_fma_f32 v51, 0x3fb8aa3b, v21, -v37
	v_rndne_f32_e32 v39, v37
	v_fmac_f32_e32 v49, 0x32a5705f, v19
	v_sub_f32_e32 v36, v36, v50
	v_add_f32_e32 v35, v35, v47
	v_exp_f32_e32 v34, v34
	v_ldexp_f32 v33, v33, v44
	v_cmp_ngt_f32_e32 vcc_lo, 0xc2ce8ed0, v13
	v_cndmask_b32_e64 v32, 0, v32, s5
	v_cmp_nlt_f32_e64 s5, 0x42b17218, v9
	v_fma_f32 v41, 0x3fb8aa3b, v23, -v38
	v_rndne_f32_e32 v43, v38
	v_cvt_i32_f32_e32 v46, v46
	v_fmac_f32_e32 v51, 0x32a5705f, v21
	v_sub_f32_e32 v37, v37, v39
	v_add_f32_e32 v36, v36, v49
	v_exp_f32_e32 v35, v35
	v_cndmask_b32_e64 v9, 0x7f800000, v31, s5
	v_cndmask_b32_e32 v31, 0, v33, vcc_lo
	v_cmp_nlt_f32_e32 vcc_lo, 0x42b17218, v11
	v_cvt_i32_f32_e32 v48, v48
	v_fmac_f32_e32 v41, 0x32a5705f, v23
	v_sub_f32_e32 v38, v38, v43
	v_add_f32_e32 v37, v37, v51
	v_exp_f32_e32 v36, v36
	v_ldexp_f32 v34, v34, v46
	v_cmp_ngt_f32_e64 s0, 0xc2ce8ed0, v15
	v_cndmask_b32_e32 v11, 0x7f800000, v32, vcc_lo
	v_fmac_f32_e32 v8, v9, v10
	v_cmp_nlt_f32_e32 vcc_lo, 0x42b17218, v13
	v_cvt_i32_f32_e32 v50, v50
	v_add_f32_e32 v38, v38, v41
	v_exp_f32_e32 v37, v37
	v_ldexp_f32 v35, v35, v48
	v_cmp_ngt_f32_e64 s1, 0xc2ce8ed0, v17
	v_cndmask_b32_e32 v10, 0x7f800000, v31, vcc_lo
	v_fmac_f32_e32 v8, v11, v12
	v_cmp_nlt_f32_e32 vcc_lo, 0x42b17218, v15
	v_cvt_i32_f32_e32 v39, v39
	v_exp_f32_e32 v38, v38
	v_ldexp_f32 v36, v36, v50
	v_cmp_ngt_f32_e64 s2, 0xc2ce8ed0, v19
	v_fmac_f32_e32 v8, v10, v14
	v_cvt_i32_f32_e32 v43, v43
	v_ldexp_f32 v37, v37, v39
	v_cmp_ngt_f32_e64 s3, 0xc2ce8ed0, v21
	v_cmp_ngt_f32_e64 s4, 0xc2ce8ed0, v23
	v_ldexp_f32 v38, v38, v43
	s_waitcnt vmcnt(7)
	v_fmac_f32_e32 v7, v25, v9
	v_cndmask_b32_e64 v9, 0, v34, s0
	s_waitcnt vmcnt(6)
	v_fmac_f32_e32 v7, v26, v11
	v_cndmask_b32_e64 v11, 0, v35, s1
	v_cndmask_b32_e32 v9, 0x7f800000, v9, vcc_lo
	v_cmp_nlt_f32_e32 vcc_lo, 0x42b17218, v17
	v_fmac_f32_e32 v8, v9, v16
	v_cndmask_b32_e32 v11, 0x7f800000, v11, vcc_lo
	v_cmp_nlt_f32_e32 vcc_lo, 0x42b17218, v19
	s_waitcnt vmcnt(5)
	v_fmac_f32_e32 v7, v27, v10
	v_cndmask_b32_e64 v10, 0, v36, s2
	v_fmac_f32_e32 v8, v11, v18
	s_waitcnt vmcnt(4)
	v_fmac_f32_e32 v7, v28, v9
	v_cndmask_b32_e64 v9, 0, v37, s3
	v_cndmask_b32_e32 v10, 0x7f800000, v10, vcc_lo
	v_cmp_nlt_f32_e32 vcc_lo, 0x42b17218, v21
	v_fmac_f32_e32 v8, v10, v20
	v_cndmask_b32_e32 v9, 0x7f800000, v9, vcc_lo
	v_cmp_nlt_f32_e32 vcc_lo, 0x42b17218, v23
	s_waitcnt vmcnt(3)
	v_fmac_f32_e32 v7, v29, v11
	v_cndmask_b32_e64 v11, 0, v38, s4
	v_fmac_f32_e32 v8, v9, v22
	s_waitcnt vmcnt(2)
	v_fmac_f32_e32 v7, v30, v10
	v_cndmask_b32_e32 v10, 0x7f800000, v11, vcc_lo
	s_waitcnt vmcnt(1)
	v_fmac_f32_e32 v7, v2, v9
	v_fmac_f32_e32 v8, v10, v24
	s_waitcnt vmcnt(0)
	v_fmac_f32_e32 v7, v3, v10
	s_cbranch_scc0 .LBB4_14
; %bb.15:
	s_and_b32 s0, s9, 7
	s_cmp_eq_u32 s0, 0
	s_cbranch_scc0 .LBB4_18
	s_branch .LBB4_20
.LBB4_16:
	v_mov_b32_e32 v0, 0x7fc00000
	s_branch .LBB4_21
.LBB4_17:
	v_mov_b32_e32 v7, 0
	v_mov_b32_e32 v8, 0
	s_mov_b32 s12, 0
	s_and_b32 s0, s9, 7
	s_cmp_eq_u32 s0, 0
	s_cbranch_scc1 .LBB4_20
.LBB4_18:
	v_lshl_or_b32 v0, s12, 6, v0
	v_mov_b32_e32 v1, 0
	s_lshl_b32 s1, s12, 3
	s_add_i32 s1, s1, 0
	s_inst_prefetch 0x1
	.p2align	6
.LBB4_19:                               ; =>This Inner Loop Header: Depth=1
	v_lshlrev_b64 v[2:3], 2, v[0:1]
	v_add_nc_u32_e32 v0, 64, v0
	s_add_i32 s0, s0, -1
	v_add_co_u32 v2, vcc_lo, s7, v2
	v_add_co_ci_u32_e64 v3, null, s8, v3, vcc_lo
	global_load_dword v4, v[2:3], off
	v_mov_b32_e32 v2, s1
	s_add_i32 s1, s1, 8
	s_cmp_lg_u32 s0, 0
	ds_read_b64 v[2:3], v2
	s_waitcnt lgkmcnt(0)
	v_sub_f32_e32 v2, v2, v6
	v_mul_f32_e32 v9, 0x3fb8aa3b, v2
	v_cmp_ngt_f32_e32 vcc_lo, 0xc2ce8ed0, v2
	v_fma_f32 v10, 0x3fb8aa3b, v2, -v9
	v_rndne_f32_e32 v11, v9
	v_fmac_f32_e32 v10, 0x32a5705f, v2
	v_sub_f32_e32 v9, v9, v11
	v_add_f32_e32 v9, v9, v10
	v_cvt_i32_f32_e32 v10, v11
	v_exp_f32_e32 v9, v9
	v_ldexp_f32 v9, v9, v10
	v_cndmask_b32_e32 v9, 0, v9, vcc_lo
	v_cmp_nlt_f32_e32 vcc_lo, 0x42b17218, v2
	v_cndmask_b32_e32 v2, 0x7f800000, v9, vcc_lo
	v_fmac_f32_e32 v8, v2, v3
	s_waitcnt vmcnt(0)
	v_fmac_f32_e32 v7, v4, v2
	s_cbranch_scc1 .LBB4_19
.LBB4_20:
	s_inst_prefetch 0x2
	v_div_scale_f32 v0, null, v8, v8, v7
	v_rcp_f32_e32 v1, v0
	v_fma_f32 v2, -v0, v1, 1.0
	v_fmac_f32_e32 v1, v2, v1
	v_div_scale_f32 v2, vcc_lo, v7, v8, v7
	v_mul_f32_e32 v3, v2, v1
	v_fma_f32 v4, -v0, v3, v2
	v_fmac_f32_e32 v3, v4, v1
	v_fma_f32 v0, -v0, v3, v2
	v_div_fmas_f32 v0, v0, v1, v3
	v_div_fixup_f32 v0, v0, v8, v7
.LBB4_21:
	s_lshl_b32 s0, s6, 6
	s_ashr_i32 s1, s0, 31
	s_lshl_b64 s[0:1], s[0:1], 2
	s_add_u32 s0, s10, s0
	s_addc_u32 s1, s11, s1
	global_store_dword v5, v0, s[0:1]
	s_endpgm
	.section	.rodata,"a",@progbits
	.p2align	6, 0x0
	.amdhsa_kernel _ZL26flash_attn_combine_resultsILi64EEvPKfPK15HIP_vector_typeIfLj2EEPfi
		.amdhsa_group_segment_fixed_size 0
		.amdhsa_private_segment_fixed_size 0
		.amdhsa_kernarg_size 288
		.amdhsa_user_sgpr_count 6
		.amdhsa_user_sgpr_private_segment_buffer 1
		.amdhsa_user_sgpr_dispatch_ptr 0
		.amdhsa_user_sgpr_queue_ptr 0
		.amdhsa_user_sgpr_kernarg_segment_ptr 1
		.amdhsa_user_sgpr_dispatch_id 0
		.amdhsa_user_sgpr_flat_scratch_init 0
		.amdhsa_user_sgpr_private_segment_size 0
		.amdhsa_wavefront_size32 1
		.amdhsa_uses_dynamic_stack 0
		.amdhsa_system_sgpr_private_segment_wavefront_offset 0
		.amdhsa_system_sgpr_workgroup_id_x 1
		.amdhsa_system_sgpr_workgroup_id_y 1
		.amdhsa_system_sgpr_workgroup_id_z 1
		.amdhsa_system_sgpr_workgroup_info 0
		.amdhsa_system_vgpr_workitem_id 0
		.amdhsa_next_free_vgpr 52
		.amdhsa_next_free_sgpr 18
		.amdhsa_reserve_vcc 1
		.amdhsa_reserve_flat_scratch 0
		.amdhsa_float_round_mode_32 0
		.amdhsa_float_round_mode_16_64 0
		.amdhsa_float_denorm_mode_32 3
		.amdhsa_float_denorm_mode_16_64 3
		.amdhsa_dx10_clamp 1
		.amdhsa_ieee_mode 1
		.amdhsa_fp16_overflow 0
		.amdhsa_workgroup_processor_mode 1
		.amdhsa_memory_ordered 1
		.amdhsa_forward_progress 1
		.amdhsa_shared_vgpr_count 0
		.amdhsa_exception_fp_ieee_invalid_op 0
		.amdhsa_exception_fp_denorm_src 0
		.amdhsa_exception_fp_ieee_div_zero 0
		.amdhsa_exception_fp_ieee_overflow 0
		.amdhsa_exception_fp_ieee_underflow 0
		.amdhsa_exception_fp_ieee_inexact 0
		.amdhsa_exception_int_div_zero 0
	.end_amdhsa_kernel
	.section	.text._ZL26flash_attn_combine_resultsILi64EEvPKfPK15HIP_vector_typeIfLj2EEPfi,"axG",@progbits,_ZL26flash_attn_combine_resultsILi64EEvPKfPK15HIP_vector_typeIfLj2EEPfi,comdat
.Lfunc_end4:
	.size	_ZL26flash_attn_combine_resultsILi64EEvPKfPK15HIP_vector_typeIfLj2EEPfi, .Lfunc_end4-_ZL26flash_attn_combine_resultsILi64EEvPKfPK15HIP_vector_typeIfLj2EEPfi
                                        ; -- End function
	.set _ZL26flash_attn_combine_resultsILi64EEvPKfPK15HIP_vector_typeIfLj2EEPfi.num_vgpr, 52
	.set _ZL26flash_attn_combine_resultsILi64EEvPKfPK15HIP_vector_typeIfLj2EEPfi.num_agpr, 0
	.set _ZL26flash_attn_combine_resultsILi64EEvPKfPK15HIP_vector_typeIfLj2EEPfi.numbered_sgpr, 18
	.set _ZL26flash_attn_combine_resultsILi64EEvPKfPK15HIP_vector_typeIfLj2EEPfi.num_named_barrier, 0
	.set _ZL26flash_attn_combine_resultsILi64EEvPKfPK15HIP_vector_typeIfLj2EEPfi.private_seg_size, 0
	.set _ZL26flash_attn_combine_resultsILi64EEvPKfPK15HIP_vector_typeIfLj2EEPfi.uses_vcc, 1
	.set _ZL26flash_attn_combine_resultsILi64EEvPKfPK15HIP_vector_typeIfLj2EEPfi.uses_flat_scratch, 0
	.set _ZL26flash_attn_combine_resultsILi64EEvPKfPK15HIP_vector_typeIfLj2EEPfi.has_dyn_sized_stack, 0
	.set _ZL26flash_attn_combine_resultsILi64EEvPKfPK15HIP_vector_typeIfLj2EEPfi.has_recursion, 0
	.set _ZL26flash_attn_combine_resultsILi64EEvPKfPK15HIP_vector_typeIfLj2EEPfi.has_indirect_call, 0
	.section	.AMDGPU.csdata,"",@progbits
; Kernel info:
; codeLenInByte = 2260
; TotalNumSgprs: 20
; NumVgprs: 52
; ScratchSize: 0
; MemoryBound: 0
; FloatMode: 240
; IeeeMode: 1
; LDSByteSize: 0 bytes/workgroup (compile time only)
; SGPRBlocks: 0
; VGPRBlocks: 6
; NumSGPRsForWavesPerEU: 20
; NumVGPRsForWavesPerEU: 52
; Occupancy: 16
; WaveLimiterHint : 0
; COMPUTE_PGM_RSRC2:SCRATCH_EN: 0
; COMPUTE_PGM_RSRC2:USER_SGPR: 6
; COMPUTE_PGM_RSRC2:TRAP_HANDLER: 0
; COMPUTE_PGM_RSRC2:TGID_X_EN: 1
; COMPUTE_PGM_RSRC2:TGID_Y_EN: 1
; COMPUTE_PGM_RSRC2:TGID_Z_EN: 1
; COMPUTE_PGM_RSRC2:TIDIG_COMP_CNT: 0
	.text
	.p2align	2                               ; -- Begin function __ockl_printf_append_string_n
	.type	__ockl_printf_append_string_n,@function
__ockl_printf_append_string_n:          ; @__ockl_printf_append_string_n
; %bb.0:
	s_waitcnt vmcnt(0) expcnt(0) lgkmcnt(0)
	v_mov_b32_e32 v3, v0
	v_mbcnt_lo_u32_b32 v36, -1, 0
	s_getpc_b64 s[4:5]
	s_add_u32 s4, s4, __FUNCTION__._ZL18flash_attn_ext_vecILi64ELi1EL9ggml_type2ELS0_8ELb1EEvPKcS2_S2_S2_S2_PKiPfP15HIP_vector_typeIfLj2EEffffjfiS6_IjLj3EEiiiiiiiiiiiliiliiiiil@rel32@lo+4
	s_addc_u32 s5, s5, __FUNCTION__._ZL18flash_attn_ext_vecILi64ELi1EL9ggml_type2ELS0_8ELb1EEvPKcS2_S2_S2_S2_PKiPfP15HIP_vector_typeIfLj2EEffffjfiS6_IjLj3EEiiiiiiiiiiiliiliiiiil@rel32@hi+12
	s_cmp_lg_u64 s[4:5], 0
	s_cbranch_scc0 .LBB5_87
; %bb.1:
	s_load_dwordx2 s[6:7], s[8:9], 0x50
	v_and_b32_e32 v0, -3, v3
	s_getpc_b64 s[4:5]
	s_add_u32 s4, s4, __FUNCTION__._ZL18flash_attn_ext_vecILi64ELi1EL9ggml_type2ELS0_8ELb1EEvPKcS2_S2_S2_S2_PKiPfP15HIP_vector_typeIfLj2EEffffjfiS6_IjLj3EEiiiiiiiiiiiliiliiiiil@rel32@lo+4
	s_addc_u32 s5, s5, __FUNCTION__._ZL18flash_attn_ext_vecILi64ELi1EL9ggml_type2ELS0_8ELb1EEvPKcS2_S2_S2_S2_PKiPfP15HIP_vector_typeIfLj2EEffffjfiS6_IjLj3EEiiiiiiiiiiiliiliiiiil@rel32@hi+12
	v_mov_b32_e32 v7, v1
	v_mov_b32_e32 v31, s5
	v_and_b32_e32 v2, 2, v3
	v_mov_b32_e32 v11, 0
	v_mov_b32_e32 v30, s4
	;; [unrolled: 1-line block ×5, first 2 shown]
	s_mov_b32 s15, 0
	s_mov_b32 s14, 0
	s_branch .LBB5_3
.LBB5_2:                                ;   in Loop: Header=BB5_3 Depth=1
	s_or_b32 exec_lo, exec_lo, s12
	v_sub_co_u32 v4, vcc_lo, v4, v32
	v_sub_co_ci_u32_e64 v5, null, v5, v33, vcc_lo
	v_add_co_u32 v30, s4, v30, v32
	v_add_co_ci_u32_e64 v31, null, v31, v33, s4
	v_cmp_eq_u64_e32 vcc_lo, 0, v[4:5]
	s_or_b32 s14, vcc_lo, s14
	s_andn2_b32 exec_lo, exec_lo, s14
	s_cbranch_execz .LBB5_85
.LBB5_3:                                ; =>This Loop Header: Depth=1
                                        ;     Child Loop BB5_6 Depth 2
                                        ;     Child Loop BB5_14 Depth 2
	;; [unrolled: 1-line block ×11, first 2 shown]
	v_cmp_gt_u64_e32 vcc_lo, 56, v[4:5]
	s_mov_b32 s5, exec_lo
	v_cndmask_b32_e32 v33, 0, v5, vcc_lo
	v_cndmask_b32_e32 v32, 56, v4, vcc_lo
	v_add_co_u32 v16, vcc_lo, v30, 8
	v_add_co_ci_u32_e64 v17, null, 0, v31, vcc_lo
	v_cmpx_gt_u64_e32 8, v[4:5]
	s_xor_b32 s5, exec_lo, s5
	s_cbranch_execz .LBB5_9
; %bb.4:                                ;   in Loop: Header=BB5_3 Depth=1
	v_mov_b32_e32 v8, 0
	v_mov_b32_e32 v9, 0
	s_mov_b32 s12, exec_lo
	v_cmpx_ne_u64_e32 0, v[4:5]
	s_cbranch_execz .LBB5_8
; %bb.5:                                ;   in Loop: Header=BB5_3 Depth=1
	v_lshlrev_b64 v[14:15], 3, v[32:33]
	v_mov_b32_e32 v8, 0
	v_mov_b32_e32 v15, v30
	;; [unrolled: 1-line block ×4, first 2 shown]
	s_mov_b64 s[10:11], 0
	s_mov_b32 s13, 0
	.p2align	6
.LBB5_6:                                ;   Parent Loop BB5_3 Depth=1
                                        ; =>  This Inner Loop Header: Depth=2
	global_load_ubyte v0, v[15:16], off
	v_mov_b32_e32 v18, s15
	v_add_co_u32 v15, vcc_lo, v15, 1
	v_add_co_ci_u32_e64 v16, null, 0, v16, vcc_lo
	s_waitcnt vmcnt(0)
	v_and_b32_e32 v17, 0xffff, v0
	v_lshlrev_b64 v[17:18], s10, v[17:18]
	s_add_u32 s10, s10, 8
	s_addc_u32 s11, s11, 0
	v_cmp_eq_u32_e64 s4, s10, v14
	v_or_b32_e32 v9, v18, v9
	v_or_b32_e32 v8, v17, v8
	s_or_b32 s13, s4, s13
	s_andn2_b32 exec_lo, exec_lo, s13
	s_cbranch_execnz .LBB5_6
; %bb.7:                                ;   in Loop: Header=BB5_3 Depth=1
	s_or_b32 exec_lo, exec_lo, s13
.LBB5_8:                                ;   in Loop: Header=BB5_3 Depth=1
	s_or_b32 exec_lo, exec_lo, s12
	v_mov_b32_e32 v16, v30
	v_mov_b32_e32 v17, v31
.LBB5_9:                                ;   in Loop: Header=BB5_3 Depth=1
	s_or_saveexec_b32 s4, s5
	v_mov_b32_e32 v0, 0
	s_xor_b32 exec_lo, exec_lo, s4
	s_cbranch_execz .LBB5_11
; %bb.10:                               ;   in Loop: Header=BB5_3 Depth=1
	global_load_dwordx2 v[8:9], v[30:31], off
	v_add_nc_u32_e32 v0, -8, v32
.LBB5_11:                               ;   in Loop: Header=BB5_3 Depth=1
	s_or_b32 exec_lo, exec_lo, s4
	v_add_co_u32 v18, s4, v16, 8
	v_add_co_ci_u32_e64 v19, null, 0, v17, s4
                                        ; implicit-def: $vgpr14_vgpr15
	s_mov_b32 s4, exec_lo
	v_cmpx_gt_u32_e32 8, v0
	s_xor_b32 s12, exec_lo, s4
	s_cbranch_execz .LBB5_17
; %bb.12:                               ;   in Loop: Header=BB5_3 Depth=1
	v_mov_b32_e32 v14, 0
	v_mov_b32_e32 v15, 0
	s_mov_b32 s13, exec_lo
	v_cmpx_ne_u32_e32 0, v0
	s_cbranch_execz .LBB5_16
; %bb.13:                               ;   in Loop: Header=BB5_3 Depth=1
	v_mov_b32_e32 v14, 0
	v_mov_b32_e32 v15, 0
	s_mov_b64 s[4:5], 0
	s_mov_b32 s16, 0
	s_mov_b64 s[10:11], 0
	.p2align	6
.LBB5_14:                               ;   Parent Loop BB5_3 Depth=1
                                        ; =>  This Inner Loop Header: Depth=2
	v_add_co_u32 v18, vcc_lo, v16, s10
	v_add_co_ci_u32_e64 v19, null, s11, v17, vcc_lo
	s_add_u32 s10, s10, 1
	s_addc_u32 s11, s11, 0
	v_cmp_eq_u32_e32 vcc_lo, s10, v0
	global_load_ubyte v10, v[18:19], off
	v_mov_b32_e32 v19, s15
	s_waitcnt vmcnt(0)
	v_and_b32_e32 v18, 0xffff, v10
	v_lshlrev_b64 v[18:19], s4, v[18:19]
	s_add_u32 s4, s4, 8
	s_addc_u32 s5, s5, 0
	s_or_b32 s16, vcc_lo, s16
	v_or_b32_e32 v15, v19, v15
	v_or_b32_e32 v14, v18, v14
	s_andn2_b32 exec_lo, exec_lo, s16
	s_cbranch_execnz .LBB5_14
; %bb.15:                               ;   in Loop: Header=BB5_3 Depth=1
	s_or_b32 exec_lo, exec_lo, s16
.LBB5_16:                               ;   in Loop: Header=BB5_3 Depth=1
	s_or_b32 exec_lo, exec_lo, s13
	v_mov_b32_e32 v19, v17
	v_mov_b32_e32 v18, v16
                                        ; implicit-def: $vgpr0
.LBB5_17:                               ;   in Loop: Header=BB5_3 Depth=1
	s_or_saveexec_b32 s4, s12
	v_mov_b32_e32 v10, 0
	s_xor_b32 exec_lo, exec_lo, s4
	s_cbranch_execz .LBB5_19
; %bb.18:                               ;   in Loop: Header=BB5_3 Depth=1
	global_load_dwordx2 v[14:15], v[16:17], off
	v_add_nc_u32_e32 v10, -8, v0
.LBB5_19:                               ;   in Loop: Header=BB5_3 Depth=1
	s_or_b32 exec_lo, exec_lo, s4
	v_add_co_u32 v20, s4, v18, 8
	v_add_co_ci_u32_e64 v21, null, 0, v19, s4
	s_mov_b32 s4, exec_lo
	v_cmpx_gt_u32_e32 8, v10
	s_xor_b32 s12, exec_lo, s4
	s_cbranch_execz .LBB5_25
; %bb.20:                               ;   in Loop: Header=BB5_3 Depth=1
	v_mov_b32_e32 v16, 0
	v_mov_b32_e32 v17, 0
	s_mov_b32 s13, exec_lo
	v_cmpx_ne_u32_e32 0, v10
	s_cbranch_execz .LBB5_24
; %bb.21:                               ;   in Loop: Header=BB5_3 Depth=1
	v_mov_b32_e32 v16, 0
	v_mov_b32_e32 v17, 0
	s_mov_b64 s[4:5], 0
	s_mov_b32 s16, 0
	s_mov_b64 s[10:11], 0
	.p2align	6
.LBB5_22:                               ;   Parent Loop BB5_3 Depth=1
                                        ; =>  This Inner Loop Header: Depth=2
	v_add_co_u32 v20, vcc_lo, v18, s10
	v_add_co_ci_u32_e64 v21, null, s11, v19, vcc_lo
	s_add_u32 s10, s10, 1
	s_addc_u32 s11, s11, 0
	v_cmp_eq_u32_e32 vcc_lo, s10, v10
	global_load_ubyte v0, v[20:21], off
	v_mov_b32_e32 v21, s15
	s_waitcnt vmcnt(0)
	v_and_b32_e32 v20, 0xffff, v0
	v_lshlrev_b64 v[20:21], s4, v[20:21]
	s_add_u32 s4, s4, 8
	s_addc_u32 s5, s5, 0
	s_or_b32 s16, vcc_lo, s16
	v_or_b32_e32 v17, v21, v17
	v_or_b32_e32 v16, v20, v16
	s_andn2_b32 exec_lo, exec_lo, s16
	s_cbranch_execnz .LBB5_22
; %bb.23:                               ;   in Loop: Header=BB5_3 Depth=1
	s_or_b32 exec_lo, exec_lo, s16
.LBB5_24:                               ;   in Loop: Header=BB5_3 Depth=1
	s_or_b32 exec_lo, exec_lo, s13
	v_mov_b32_e32 v21, v19
	v_mov_b32_e32 v20, v18
                                        ; implicit-def: $vgpr10
.LBB5_25:                               ;   in Loop: Header=BB5_3 Depth=1
	s_or_saveexec_b32 s4, s12
	v_mov_b32_e32 v0, 0
	s_xor_b32 exec_lo, exec_lo, s4
	s_cbranch_execz .LBB5_27
; %bb.26:                               ;   in Loop: Header=BB5_3 Depth=1
	global_load_dwordx2 v[16:17], v[18:19], off
	v_add_nc_u32_e32 v0, -8, v10
.LBB5_27:                               ;   in Loop: Header=BB5_3 Depth=1
	s_or_b32 exec_lo, exec_lo, s4
	v_add_co_u32 v22, s4, v20, 8
	v_add_co_ci_u32_e64 v23, null, 0, v21, s4
                                        ; implicit-def: $vgpr18_vgpr19
	s_mov_b32 s4, exec_lo
	v_cmpx_gt_u32_e32 8, v0
	s_xor_b32 s12, exec_lo, s4
	s_cbranch_execz .LBB5_33
; %bb.28:                               ;   in Loop: Header=BB5_3 Depth=1
	v_mov_b32_e32 v18, 0
	v_mov_b32_e32 v19, 0
	s_mov_b32 s13, exec_lo
	v_cmpx_ne_u32_e32 0, v0
	s_cbranch_execz .LBB5_32
; %bb.29:                               ;   in Loop: Header=BB5_3 Depth=1
	v_mov_b32_e32 v18, 0
	v_mov_b32_e32 v19, 0
	s_mov_b64 s[4:5], 0
	s_mov_b32 s16, 0
	s_mov_b64 s[10:11], 0
	.p2align	6
.LBB5_30:                               ;   Parent Loop BB5_3 Depth=1
                                        ; =>  This Inner Loop Header: Depth=2
	v_add_co_u32 v22, vcc_lo, v20, s10
	v_add_co_ci_u32_e64 v23, null, s11, v21, vcc_lo
	s_add_u32 s10, s10, 1
	s_addc_u32 s11, s11, 0
	v_cmp_eq_u32_e32 vcc_lo, s10, v0
	global_load_ubyte v10, v[22:23], off
	v_mov_b32_e32 v23, s15
	s_waitcnt vmcnt(0)
	v_and_b32_e32 v22, 0xffff, v10
	v_lshlrev_b64 v[22:23], s4, v[22:23]
	s_add_u32 s4, s4, 8
	s_addc_u32 s5, s5, 0
	s_or_b32 s16, vcc_lo, s16
	v_or_b32_e32 v19, v23, v19
	v_or_b32_e32 v18, v22, v18
	s_andn2_b32 exec_lo, exec_lo, s16
	s_cbranch_execnz .LBB5_30
; %bb.31:                               ;   in Loop: Header=BB5_3 Depth=1
	s_or_b32 exec_lo, exec_lo, s16
.LBB5_32:                               ;   in Loop: Header=BB5_3 Depth=1
	s_or_b32 exec_lo, exec_lo, s13
	v_mov_b32_e32 v23, v21
	v_mov_b32_e32 v22, v20
                                        ; implicit-def: $vgpr0
.LBB5_33:                               ;   in Loop: Header=BB5_3 Depth=1
	s_or_saveexec_b32 s4, s12
	v_mov_b32_e32 v10, 0
	s_xor_b32 exec_lo, exec_lo, s4
	s_cbranch_execz .LBB5_35
; %bb.34:                               ;   in Loop: Header=BB5_3 Depth=1
	global_load_dwordx2 v[18:19], v[20:21], off
	v_add_nc_u32_e32 v10, -8, v0
.LBB5_35:                               ;   in Loop: Header=BB5_3 Depth=1
	s_or_b32 exec_lo, exec_lo, s4
	v_add_co_u32 v24, s4, v22, 8
	v_add_co_ci_u32_e64 v25, null, 0, v23, s4
	s_mov_b32 s4, exec_lo
	v_cmpx_gt_u32_e32 8, v10
	s_xor_b32 s12, exec_lo, s4
	s_cbranch_execz .LBB5_41
; %bb.36:                               ;   in Loop: Header=BB5_3 Depth=1
	v_mov_b32_e32 v20, 0
	v_mov_b32_e32 v21, 0
	s_mov_b32 s13, exec_lo
	v_cmpx_ne_u32_e32 0, v10
	s_cbranch_execz .LBB5_40
; %bb.37:                               ;   in Loop: Header=BB5_3 Depth=1
	v_mov_b32_e32 v20, 0
	v_mov_b32_e32 v21, 0
	s_mov_b64 s[4:5], 0
	s_mov_b32 s16, 0
	s_mov_b64 s[10:11], 0
	.p2align	6
.LBB5_38:                               ;   Parent Loop BB5_3 Depth=1
                                        ; =>  This Inner Loop Header: Depth=2
	v_add_co_u32 v24, vcc_lo, v22, s10
	v_add_co_ci_u32_e64 v25, null, s11, v23, vcc_lo
	s_add_u32 s10, s10, 1
	s_addc_u32 s11, s11, 0
	v_cmp_eq_u32_e32 vcc_lo, s10, v10
	global_load_ubyte v0, v[24:25], off
	v_mov_b32_e32 v25, s15
	s_waitcnt vmcnt(0)
	v_and_b32_e32 v24, 0xffff, v0
	v_lshlrev_b64 v[24:25], s4, v[24:25]
	s_add_u32 s4, s4, 8
	s_addc_u32 s5, s5, 0
	s_or_b32 s16, vcc_lo, s16
	v_or_b32_e32 v21, v25, v21
	v_or_b32_e32 v20, v24, v20
	s_andn2_b32 exec_lo, exec_lo, s16
	s_cbranch_execnz .LBB5_38
; %bb.39:                               ;   in Loop: Header=BB5_3 Depth=1
	s_or_b32 exec_lo, exec_lo, s16
.LBB5_40:                               ;   in Loop: Header=BB5_3 Depth=1
	s_or_b32 exec_lo, exec_lo, s13
	v_mov_b32_e32 v25, v23
	v_mov_b32_e32 v24, v22
                                        ; implicit-def: $vgpr10
.LBB5_41:                               ;   in Loop: Header=BB5_3 Depth=1
	s_or_saveexec_b32 s4, s12
	v_mov_b32_e32 v0, 0
	s_xor_b32 exec_lo, exec_lo, s4
	s_cbranch_execz .LBB5_43
; %bb.42:                               ;   in Loop: Header=BB5_3 Depth=1
	global_load_dwordx2 v[20:21], v[22:23], off
	v_add_nc_u32_e32 v0, -8, v10
.LBB5_43:                               ;   in Loop: Header=BB5_3 Depth=1
	s_or_b32 exec_lo, exec_lo, s4
	v_add_co_u32 v26, s4, v24, 8
	v_add_co_ci_u32_e64 v27, null, 0, v25, s4
                                        ; implicit-def: $vgpr22_vgpr23
	s_mov_b32 s4, exec_lo
	v_cmpx_gt_u32_e32 8, v0
	s_xor_b32 s12, exec_lo, s4
	s_cbranch_execz .LBB5_49
; %bb.44:                               ;   in Loop: Header=BB5_3 Depth=1
	v_mov_b32_e32 v22, 0
	v_mov_b32_e32 v23, 0
	s_mov_b32 s13, exec_lo
	v_cmpx_ne_u32_e32 0, v0
	s_cbranch_execz .LBB5_48
; %bb.45:                               ;   in Loop: Header=BB5_3 Depth=1
	v_mov_b32_e32 v22, 0
	v_mov_b32_e32 v23, 0
	s_mov_b64 s[4:5], 0
	s_mov_b32 s16, 0
	s_mov_b64 s[10:11], 0
	.p2align	6
.LBB5_46:                               ;   Parent Loop BB5_3 Depth=1
                                        ; =>  This Inner Loop Header: Depth=2
	v_add_co_u32 v26, vcc_lo, v24, s10
	v_add_co_ci_u32_e64 v27, null, s11, v25, vcc_lo
	s_add_u32 s10, s10, 1
	s_addc_u32 s11, s11, 0
	v_cmp_eq_u32_e32 vcc_lo, s10, v0
	global_load_ubyte v10, v[26:27], off
	v_mov_b32_e32 v27, s15
	s_waitcnt vmcnt(0)
	v_and_b32_e32 v26, 0xffff, v10
	v_lshlrev_b64 v[26:27], s4, v[26:27]
	s_add_u32 s4, s4, 8
	s_addc_u32 s5, s5, 0
	s_or_b32 s16, vcc_lo, s16
	v_or_b32_e32 v23, v27, v23
	v_or_b32_e32 v22, v26, v22
	s_andn2_b32 exec_lo, exec_lo, s16
	s_cbranch_execnz .LBB5_46
; %bb.47:                               ;   in Loop: Header=BB5_3 Depth=1
	s_or_b32 exec_lo, exec_lo, s16
.LBB5_48:                               ;   in Loop: Header=BB5_3 Depth=1
	s_or_b32 exec_lo, exec_lo, s13
	v_mov_b32_e32 v27, v25
	v_mov_b32_e32 v26, v24
                                        ; implicit-def: $vgpr0
.LBB5_49:                               ;   in Loop: Header=BB5_3 Depth=1
	s_or_saveexec_b32 s4, s12
	v_mov_b32_e32 v10, 0
	s_xor_b32 exec_lo, exec_lo, s4
	s_cbranch_execz .LBB5_51
; %bb.50:                               ;   in Loop: Header=BB5_3 Depth=1
	global_load_dwordx2 v[22:23], v[24:25], off
	v_add_nc_u32_e32 v10, -8, v0
.LBB5_51:                               ;   in Loop: Header=BB5_3 Depth=1
	s_or_b32 exec_lo, exec_lo, s4
	s_mov_b32 s4, exec_lo
	v_cmpx_gt_u32_e32 8, v10
	s_xor_b32 s10, exec_lo, s4
	s_cbranch_execz .LBB5_57
; %bb.52:                               ;   in Loop: Header=BB5_3 Depth=1
	v_mov_b32_e32 v24, 0
	v_mov_b32_e32 v25, 0
	s_mov_b32 s11, exec_lo
	v_cmpx_ne_u32_e32 0, v10
	s_cbranch_execz .LBB5_56
; %bb.53:                               ;   in Loop: Header=BB5_3 Depth=1
	v_mov_b32_e32 v24, 0
	v_mov_b32_e32 v25, 0
	s_mov_b64 s[4:5], 0
	s_mov_b32 s12, 0
	.p2align	6
.LBB5_54:                               ;   Parent Loop BB5_3 Depth=1
                                        ; =>  This Inner Loop Header: Depth=2
	global_load_ubyte v0, v[26:27], off
	v_mov_b32_e32 v29, s15
	v_add_nc_u32_e32 v10, -1, v10
	v_add_co_u32 v26, vcc_lo, v26, 1
	v_add_co_ci_u32_e64 v27, null, 0, v27, vcc_lo
	v_cmp_eq_u32_e32 vcc_lo, 0, v10
	s_waitcnt vmcnt(0)
	v_and_b32_e32 v28, 0xffff, v0
	v_lshlrev_b64 v[28:29], s4, v[28:29]
	s_add_u32 s4, s4, 8
	s_addc_u32 s5, s5, 0
	s_or_b32 s12, vcc_lo, s12
	v_or_b32_e32 v25, v29, v25
	v_or_b32_e32 v24, v28, v24
	s_andn2_b32 exec_lo, exec_lo, s12
	s_cbranch_execnz .LBB5_54
; %bb.55:                               ;   in Loop: Header=BB5_3 Depth=1
	s_or_b32 exec_lo, exec_lo, s12
.LBB5_56:                               ;   in Loop: Header=BB5_3 Depth=1
	s_or_b32 exec_lo, exec_lo, s11
                                        ; implicit-def: $vgpr26_vgpr27
.LBB5_57:                               ;   in Loop: Header=BB5_3 Depth=1
	s_andn2_saveexec_b32 s4, s10
	s_cbranch_execz .LBB5_59
; %bb.58:                               ;   in Loop: Header=BB5_3 Depth=1
	global_load_dwordx2 v[24:25], v[26:27], off
.LBB5_59:                               ;   in Loop: Header=BB5_3 Depth=1
	s_or_b32 exec_lo, exec_lo, s4
	v_readfirstlane_b32 s4, v36
	v_mov_b32_e32 v34, 0
	v_mov_b32_e32 v35, 0
	v_cmp_eq_u32_e64 s4, s4, v36
	s_and_saveexec_b32 s5, s4
	s_cbranch_execz .LBB5_65
; %bb.60:                               ;   in Loop: Header=BB5_3 Depth=1
	s_waitcnt lgkmcnt(0)
	global_load_dwordx2 v[28:29], v11, s[6:7] offset:24 glc dlc
	s_waitcnt vmcnt(0)
	buffer_gl1_inv
	buffer_gl0_inv
	s_clause 0x1
	global_load_dwordx2 v[26:27], v11, s[6:7] offset:40
	global_load_dwordx2 v[34:35], v11, s[6:7]
	s_mov_b32 s10, exec_lo
	s_waitcnt vmcnt(1)
	v_and_b32_e32 v0, v27, v29
	v_and_b32_e32 v10, v26, v28
	v_mul_lo_u32 v0, v0, 24
	v_mul_hi_u32 v26, v10, 24
	v_mul_lo_u32 v10, v10, 24
	v_add_nc_u32_e32 v0, v26, v0
	s_waitcnt vmcnt(0)
	v_add_co_u32 v26, vcc_lo, v34, v10
	v_add_co_ci_u32_e64 v27, null, v35, v0, vcc_lo
	global_load_dwordx2 v[26:27], v[26:27], off glc dlc
	s_waitcnt vmcnt(0)
	global_atomic_cmpswap_x2 v[34:35], v11, v[26:29], s[6:7] offset:24 glc
	s_waitcnt vmcnt(0)
	buffer_gl1_inv
	buffer_gl0_inv
	v_cmpx_ne_u64_e64 v[34:35], v[28:29]
	s_cbranch_execz .LBB5_64
; %bb.61:                               ;   in Loop: Header=BB5_3 Depth=1
	s_mov_b32 s11, 0
	.p2align	6
.LBB5_62:                               ;   Parent Loop BB5_3 Depth=1
                                        ; =>  This Inner Loop Header: Depth=2
	s_sleep 1
	s_clause 0x1
	global_load_dwordx2 v[26:27], v11, s[6:7] offset:40
	global_load_dwordx2 v[37:38], v11, s[6:7]
	v_mov_b32_e32 v28, v34
	v_mov_b32_e32 v29, v35
	s_waitcnt vmcnt(1)
	v_and_b32_e32 v0, v26, v28
	v_and_b32_e32 v10, v27, v29
	s_waitcnt vmcnt(0)
	v_mad_u64_u32 v[34:35], null, v0, 24, v[37:38]
	v_mov_b32_e32 v0, v35
	v_mad_u64_u32 v[26:27], null, v10, 24, v[0:1]
	v_mov_b32_e32 v35, v26
	global_load_dwordx2 v[26:27], v[34:35], off glc dlc
	s_waitcnt vmcnt(0)
	global_atomic_cmpswap_x2 v[34:35], v11, v[26:29], s[6:7] offset:24 glc
	s_waitcnt vmcnt(0)
	buffer_gl1_inv
	buffer_gl0_inv
	v_cmp_eq_u64_e32 vcc_lo, v[34:35], v[28:29]
	s_or_b32 s11, vcc_lo, s11
	s_andn2_b32 exec_lo, exec_lo, s11
	s_cbranch_execnz .LBB5_62
; %bb.63:                               ;   in Loop: Header=BB5_3 Depth=1
	s_or_b32 exec_lo, exec_lo, s11
.LBB5_64:                               ;   in Loop: Header=BB5_3 Depth=1
	s_or_b32 exec_lo, exec_lo, s10
.LBB5_65:                               ;   in Loop: Header=BB5_3 Depth=1
	s_or_b32 exec_lo, exec_lo, s5
	s_waitcnt lgkmcnt(0)
	s_clause 0x1
	global_load_dwordx2 v[37:38], v11, s[6:7] offset:40
	global_load_dwordx4 v[26:29], v11, s[6:7]
	v_readfirstlane_b32 s11, v35
	v_readfirstlane_b32 s10, v34
	s_mov_b32 s5, exec_lo
	s_waitcnt vmcnt(1)
	v_readfirstlane_b32 s12, v37
	v_readfirstlane_b32 s13, v38
	s_and_b64 s[12:13], s[12:13], s[10:11]
	s_mul_i32 s16, s13, 24
	s_mul_hi_u32 s17, s12, 24
	s_mul_i32 s18, s12, 24
	s_add_i32 s17, s17, s16
	s_waitcnt vmcnt(0)
	v_add_co_u32 v34, vcc_lo, v26, s18
	v_add_co_ci_u32_e64 v35, null, s17, v27, vcc_lo
	s_and_saveexec_b32 s16, s4
	s_cbranch_execz .LBB5_67
; %bb.66:                               ;   in Loop: Header=BB5_3 Depth=1
	v_mov_b32_e32 v10, s5
	global_store_dwordx4 v[34:35], v[10:13], off offset:8
.LBB5_67:                               ;   in Loop: Header=BB5_3 Depth=1
	s_or_b32 exec_lo, exec_lo, s16
	v_cmp_gt_u64_e32 vcc_lo, 57, v[4:5]
	s_lshl_b64 s[12:13], s[12:13], 12
	v_and_b32_e32 v6, 0xffffff1f, v6
	v_lshl_add_u32 v37, v32, 2, 28
	v_cndmask_b32_e32 v10, 0, v2, vcc_lo
	v_add_co_u32 v0, vcc_lo, v28, s12
	v_add_co_ci_u32_e64 v28, null, s13, v29, vcc_lo
	v_or_b32_e32 v6, v6, v10
	v_lshlrev_b32_e32 v29, 6, v36
	v_readfirstlane_b32 s12, v0
	v_readfirstlane_b32 s13, v28
	v_and_or_b32 v6, 0x1e0, v37, v6
	global_store_dwordx4 v29, v[14:17], s[12:13] offset:16
	global_store_dwordx4 v29, v[6:9], s[12:13]
	global_store_dwordx4 v29, v[18:21], s[12:13] offset:32
	global_store_dwordx4 v29, v[22:25], s[12:13] offset:48
	s_and_saveexec_b32 s5, s4
	s_cbranch_execz .LBB5_75
; %bb.68:                               ;   in Loop: Header=BB5_3 Depth=1
	s_clause 0x1
	global_load_dwordx2 v[18:19], v11, s[6:7] offset:32 glc dlc
	global_load_dwordx2 v[6:7], v11, s[6:7] offset:40
	v_mov_b32_e32 v16, s10
	v_mov_b32_e32 v17, s11
	s_waitcnt vmcnt(0)
	v_readfirstlane_b32 s12, v6
	v_readfirstlane_b32 s13, v7
	s_and_b64 s[12:13], s[12:13], s[10:11]
	s_mul_i32 s13, s13, 24
	s_mul_hi_u32 s16, s12, 24
	s_mul_i32 s12, s12, 24
	s_add_i32 s16, s16, s13
	v_add_co_u32 v14, vcc_lo, v26, s12
	v_add_co_ci_u32_e64 v15, null, s16, v27, vcc_lo
	s_mov_b32 s12, exec_lo
	global_store_dwordx2 v[14:15], v[18:19], off
	s_waitcnt_vscnt null, 0x0
	global_atomic_cmpswap_x2 v[8:9], v11, v[16:19], s[6:7] offset:32 glc
	s_waitcnt vmcnt(0)
	v_cmpx_ne_u64_e64 v[8:9], v[18:19]
	s_cbranch_execz .LBB5_71
; %bb.69:                               ;   in Loop: Header=BB5_3 Depth=1
	s_mov_b32 s13, 0
.LBB5_70:                               ;   Parent Loop BB5_3 Depth=1
                                        ; =>  This Inner Loop Header: Depth=2
	v_mov_b32_e32 v6, s10
	v_mov_b32_e32 v7, s11
	s_sleep 1
	global_store_dwordx2 v[14:15], v[8:9], off
	s_waitcnt_vscnt null, 0x0
	global_atomic_cmpswap_x2 v[6:7], v11, v[6:9], s[6:7] offset:32 glc
	s_waitcnt vmcnt(0)
	v_cmp_eq_u64_e32 vcc_lo, v[6:7], v[8:9]
	v_mov_b32_e32 v9, v7
	v_mov_b32_e32 v8, v6
	s_or_b32 s13, vcc_lo, s13
	s_andn2_b32 exec_lo, exec_lo, s13
	s_cbranch_execnz .LBB5_70
.LBB5_71:                               ;   in Loop: Header=BB5_3 Depth=1
	s_or_b32 exec_lo, exec_lo, s12
	global_load_dwordx2 v[6:7], v11, s[6:7] offset:16
	s_mov_b32 s13, exec_lo
	s_mov_b32 s12, exec_lo
	v_mbcnt_lo_u32_b32 v8, s13, 0
	v_cmpx_eq_u32_e32 0, v8
	s_cbranch_execz .LBB5_73
; %bb.72:                               ;   in Loop: Header=BB5_3 Depth=1
	s_bcnt1_i32_b32 s13, s13
	v_mov_b32_e32 v10, s13
	s_waitcnt vmcnt(0)
	global_atomic_add_x2 v[6:7], v[10:11], off offset:8
.LBB5_73:                               ;   in Loop: Header=BB5_3 Depth=1
	s_or_b32 exec_lo, exec_lo, s12
	s_waitcnt vmcnt(0)
	global_load_dwordx2 v[8:9], v[6:7], off offset:16
	s_waitcnt vmcnt(0)
	v_cmp_eq_u64_e32 vcc_lo, 0, v[8:9]
	s_cbranch_vccnz .LBB5_75
; %bb.74:                               ;   in Loop: Header=BB5_3 Depth=1
	global_load_dword v10, v[6:7], off offset:24
	s_waitcnt vmcnt(0)
	v_readfirstlane_b32 s12, v10
	s_waitcnt_vscnt null, 0x0
	global_store_dwordx2 v[8:9], v[10:11], off
	s_and_b32 m0, s12, 0x7fffff
	s_sendmsg sendmsg(MSG_INTERRUPT)
.LBB5_75:                               ;   in Loop: Header=BB5_3 Depth=1
	s_or_b32 exec_lo, exec_lo, s5
	v_add_co_u32 v6, vcc_lo, v0, v29
	v_add_co_ci_u32_e64 v7, null, 0, v28, vcc_lo
	s_branch .LBB5_79
	.p2align	6
.LBB5_76:                               ;   in Loop: Header=BB5_79 Depth=2
	s_or_b32 exec_lo, exec_lo, s5
	v_readfirstlane_b32 s5, v0
	s_cmp_eq_u32 s5, 0
	s_cbranch_scc1 .LBB5_78
; %bb.77:                               ;   in Loop: Header=BB5_79 Depth=2
	s_sleep 1
	s_cbranch_execnz .LBB5_79
	s_branch .LBB5_81
	.p2align	6
.LBB5_78:                               ;   in Loop: Header=BB5_3 Depth=1
	s_branch .LBB5_81
.LBB5_79:                               ;   Parent Loop BB5_3 Depth=1
                                        ; =>  This Inner Loop Header: Depth=2
	v_mov_b32_e32 v0, 1
	s_and_saveexec_b32 s5, s4
	s_cbranch_execz .LBB5_76
; %bb.80:                               ;   in Loop: Header=BB5_79 Depth=2
	global_load_dword v0, v[34:35], off offset:20 glc dlc
	s_waitcnt vmcnt(0)
	buffer_gl1_inv
	buffer_gl0_inv
	v_and_b32_e32 v0, 1, v0
	s_branch .LBB5_76
.LBB5_81:                               ;   in Loop: Header=BB5_3 Depth=1
	global_load_dwordx2 v[6:7], v[6:7], off
	s_and_saveexec_b32 s12, s4
	s_cbranch_execz .LBB5_2
; %bb.82:                               ;   in Loop: Header=BB5_3 Depth=1
	s_clause 0x2
	global_load_dwordx2 v[8:9], v11, s[6:7] offset:40
	global_load_dwordx2 v[18:19], v11, s[6:7] offset:24 glc dlc
	global_load_dwordx2 v[14:15], v11, s[6:7]
	s_waitcnt vmcnt(2)
	v_readfirstlane_b32 s16, v8
	v_readfirstlane_b32 s17, v9
	s_add_u32 s13, s16, 1
	s_addc_u32 s18, s17, 0
	s_add_u32 s4, s13, s10
	s_addc_u32 s5, s18, s11
	s_cmp_eq_u64 s[4:5], 0
	s_cselect_b32 s5, s18, s5
	s_cselect_b32 s4, s13, s4
	v_mov_b32_e32 v17, s5
	s_and_b64 s[10:11], s[4:5], s[16:17]
	v_mov_b32_e32 v16, s4
	s_mul_i32 s11, s11, 24
	s_mul_hi_u32 s13, s10, 24
	s_mul_i32 s10, s10, 24
	s_add_i32 s13, s13, s11
	s_waitcnt vmcnt(0)
	v_add_co_u32 v8, vcc_lo, v14, s10
	v_add_co_ci_u32_e64 v9, null, s13, v15, vcc_lo
	global_store_dwordx2 v[8:9], v[18:19], off
	s_waitcnt_vscnt null, 0x0
	global_atomic_cmpswap_x2 v[16:17], v11, v[16:19], s[6:7] offset:24 glc
	s_waitcnt vmcnt(0)
	v_cmp_ne_u64_e32 vcc_lo, v[16:17], v[18:19]
	s_and_b32 exec_lo, exec_lo, vcc_lo
	s_cbranch_execz .LBB5_2
; %bb.83:                               ;   in Loop: Header=BB5_3 Depth=1
	s_mov_b32 s10, 0
.LBB5_84:                               ;   Parent Loop BB5_3 Depth=1
                                        ; =>  This Inner Loop Header: Depth=2
	v_mov_b32_e32 v14, s4
	v_mov_b32_e32 v15, s5
	s_sleep 1
	global_store_dwordx2 v[8:9], v[16:17], off
	s_waitcnt_vscnt null, 0x0
	global_atomic_cmpswap_x2 v[14:15], v11, v[14:17], s[6:7] offset:24 glc
	s_waitcnt vmcnt(0)
	v_cmp_eq_u64_e32 vcc_lo, v[14:15], v[16:17]
	v_mov_b32_e32 v17, v15
	v_mov_b32_e32 v16, v14
	s_or_b32 s10, vcc_lo, s10
	s_andn2_b32 exec_lo, exec_lo, s10
	s_cbranch_execnz .LBB5_84
	s_branch .LBB5_2
.LBB5_85:
	s_or_b32 exec_lo, exec_lo, s14
.LBB5_86:
	s_waitcnt vmcnt(0)
	v_mov_b32_e32 v0, v6
	v_mov_b32_e32 v1, v7
	s_waitcnt lgkmcnt(0)
	s_setpc_b64 s[30:31]
.LBB5_87:
                                        ; implicit-def: $vgpr6_vgpr7
	s_cbranch_execz .LBB5_86
; %bb.88:
	s_load_dwordx2 s[6:7], s[8:9], 0x50
	v_readfirstlane_b32 s4, v36
	v_mov_b32_e32 v8, 0
	v_mov_b32_e32 v9, 0
	v_cmp_eq_u32_e64 s4, s4, v36
	s_and_saveexec_b32 s5, s4
	s_cbranch_execz .LBB5_94
; %bb.89:
	v_mov_b32_e32 v0, 0
	s_mov_b32 s8, exec_lo
	s_waitcnt lgkmcnt(0)
	global_load_dwordx2 v[6:7], v0, s[6:7] offset:24 glc dlc
	s_waitcnt vmcnt(0)
	buffer_gl1_inv
	buffer_gl0_inv
	s_clause 0x1
	global_load_dwordx2 v[4:5], v0, s[6:7] offset:40
	global_load_dwordx2 v[8:9], v0, s[6:7]
	s_waitcnt vmcnt(1)
	v_and_b32_e32 v2, v5, v7
	v_and_b32_e32 v4, v4, v6
	v_mul_lo_u32 v2, v2, 24
	v_mul_hi_u32 v5, v4, 24
	v_mul_lo_u32 v4, v4, 24
	v_add_nc_u32_e32 v2, v5, v2
	s_waitcnt vmcnt(0)
	v_add_co_u32 v4, vcc_lo, v8, v4
	v_add_co_ci_u32_e64 v5, null, v9, v2, vcc_lo
	global_load_dwordx2 v[4:5], v[4:5], off glc dlc
	s_waitcnt vmcnt(0)
	global_atomic_cmpswap_x2 v[8:9], v0, v[4:7], s[6:7] offset:24 glc
	s_waitcnt vmcnt(0)
	buffer_gl1_inv
	buffer_gl0_inv
	v_cmpx_ne_u64_e64 v[8:9], v[6:7]
	s_cbranch_execz .LBB5_93
; %bb.90:
	s_mov_b32 s9, 0
	.p2align	6
.LBB5_91:                               ; =>This Inner Loop Header: Depth=1
	s_sleep 1
	s_clause 0x1
	global_load_dwordx2 v[4:5], v0, s[6:7] offset:40
	global_load_dwordx2 v[10:11], v0, s[6:7]
	v_mov_b32_e32 v6, v8
	v_mov_b32_e32 v7, v9
	s_waitcnt vmcnt(1)
	v_and_b32_e32 v2, v4, v6
	v_and_b32_e32 v4, v5, v7
	s_waitcnt vmcnt(0)
	v_mad_u64_u32 v[8:9], null, v2, 24, v[10:11]
	v_mov_b32_e32 v2, v9
	v_mad_u64_u32 v[4:5], null, v4, 24, v[2:3]
	v_mov_b32_e32 v9, v4
	global_load_dwordx2 v[4:5], v[8:9], off glc dlc
	s_waitcnt vmcnt(0)
	global_atomic_cmpswap_x2 v[8:9], v0, v[4:7], s[6:7] offset:24 glc
	s_waitcnt vmcnt(0)
	buffer_gl1_inv
	buffer_gl0_inv
	v_cmp_eq_u64_e32 vcc_lo, v[8:9], v[6:7]
	s_or_b32 s9, vcc_lo, s9
	s_andn2_b32 exec_lo, exec_lo, s9
	s_cbranch_execnz .LBB5_91
; %bb.92:
	s_or_b32 exec_lo, exec_lo, s9
.LBB5_93:
	s_or_b32 exec_lo, exec_lo, s8
.LBB5_94:
	s_or_b32 exec_lo, exec_lo, s5
	v_mov_b32_e32 v2, 0
	v_readfirstlane_b32 s9, v9
	v_readfirstlane_b32 s8, v8
	s_mov_b32 s5, exec_lo
	s_waitcnt lgkmcnt(0)
	s_clause 0x1
	global_load_dwordx2 v[10:11], v2, s[6:7] offset:40
	global_load_dwordx4 v[4:7], v2, s[6:7]
	s_waitcnt vmcnt(1)
	v_readfirstlane_b32 s10, v10
	v_readfirstlane_b32 s11, v11
	s_and_b64 s[10:11], s[10:11], s[8:9]
	s_mul_i32 s12, s11, 24
	s_mul_hi_u32 s13, s10, 24
	s_mul_i32 s14, s10, 24
	s_add_i32 s13, s13, s12
	s_waitcnt vmcnt(0)
	v_add_co_u32 v8, vcc_lo, v4, s14
	v_add_co_ci_u32_e64 v9, null, s13, v5, vcc_lo
	s_and_saveexec_b32 s12, s4
	s_cbranch_execz .LBB5_96
; %bb.95:
	v_mov_b32_e32 v10, s5
	v_mov_b32_e32 v11, v2
	;; [unrolled: 1-line block ×4, first 2 shown]
	global_store_dwordx4 v[8:9], v[10:13], off offset:8
.LBB5_96:
	s_or_b32 exec_lo, exec_lo, s12
	s_lshl_b64 s[10:11], s[10:11], 12
	v_lshlrev_b32_e32 v14, 6, v36
	v_add_co_u32 v6, vcc_lo, v6, s10
	v_add_co_ci_u32_e64 v7, null, s11, v7, vcc_lo
	s_mov_b32 s12, 0
	v_readfirstlane_b32 s10, v6
	v_add_co_u32 v6, vcc_lo, v6, v14
	s_mov_b32 s13, s12
	s_mov_b32 s14, s12
	;; [unrolled: 1-line block ×3, first 2 shown]
	v_and_or_b32 v0, 0xffffff1f, v3, 32
	v_mov_b32_e32 v3, v2
	v_readfirstlane_b32 s11, v7
	v_mov_b32_e32 v10, s12
	v_add_co_ci_u32_e64 v7, null, 0, v7, vcc_lo
	v_mov_b32_e32 v11, s13
	v_mov_b32_e32 v12, s14
	;; [unrolled: 1-line block ×3, first 2 shown]
	global_store_dwordx4 v14, v[0:3], s[10:11]
	global_store_dwordx4 v14, v[10:13], s[10:11] offset:16
	global_store_dwordx4 v14, v[10:13], s[10:11] offset:32
	;; [unrolled: 1-line block ×3, first 2 shown]
	s_and_saveexec_b32 s5, s4
	s_cbranch_execz .LBB5_104
; %bb.97:
	v_mov_b32_e32 v10, 0
	v_mov_b32_e32 v11, s8
	;; [unrolled: 1-line block ×3, first 2 shown]
	s_mov_b32 s10, exec_lo
	s_clause 0x1
	global_load_dwordx2 v[13:14], v10, s[6:7] offset:32 glc dlc
	global_load_dwordx2 v[0:1], v10, s[6:7] offset:40
	s_waitcnt vmcnt(0)
	v_and_b32_e32 v1, s9, v1
	v_and_b32_e32 v0, s8, v0
	v_mul_lo_u32 v1, v1, 24
	v_mul_hi_u32 v2, v0, 24
	v_mul_lo_u32 v0, v0, 24
	v_add_nc_u32_e32 v1, v2, v1
	v_add_co_u32 v4, vcc_lo, v4, v0
	v_add_co_ci_u32_e64 v5, null, v5, v1, vcc_lo
	global_store_dwordx2 v[4:5], v[13:14], off
	s_waitcnt_vscnt null, 0x0
	global_atomic_cmpswap_x2 v[2:3], v10, v[11:14], s[6:7] offset:32 glc
	s_waitcnt vmcnt(0)
	v_cmpx_ne_u64_e64 v[2:3], v[13:14]
	s_cbranch_execz .LBB5_100
; %bb.98:
	s_mov_b32 s11, 0
.LBB5_99:                               ; =>This Inner Loop Header: Depth=1
	v_mov_b32_e32 v0, s8
	v_mov_b32_e32 v1, s9
	s_sleep 1
	global_store_dwordx2 v[4:5], v[2:3], off
	s_waitcnt_vscnt null, 0x0
	global_atomic_cmpswap_x2 v[0:1], v10, v[0:3], s[6:7] offset:32 glc
	s_waitcnt vmcnt(0)
	v_cmp_eq_u64_e32 vcc_lo, v[0:1], v[2:3]
	v_mov_b32_e32 v3, v1
	v_mov_b32_e32 v2, v0
	s_or_b32 s11, vcc_lo, s11
	s_andn2_b32 exec_lo, exec_lo, s11
	s_cbranch_execnz .LBB5_99
.LBB5_100:
	s_or_b32 exec_lo, exec_lo, s10
	v_mov_b32_e32 v3, 0
	s_mov_b32 s11, exec_lo
	s_mov_b32 s10, exec_lo
	v_mbcnt_lo_u32_b32 v2, s11, 0
	global_load_dwordx2 v[0:1], v3, s[6:7] offset:16
	v_cmpx_eq_u32_e32 0, v2
	s_cbranch_execz .LBB5_102
; %bb.101:
	s_bcnt1_i32_b32 s11, s11
	v_mov_b32_e32 v2, s11
	s_waitcnt vmcnt(0)
	global_atomic_add_x2 v[0:1], v[2:3], off offset:8
.LBB5_102:
	s_or_b32 exec_lo, exec_lo, s10
	s_waitcnt vmcnt(0)
	global_load_dwordx2 v[2:3], v[0:1], off offset:16
	s_waitcnt vmcnt(0)
	v_cmp_eq_u64_e32 vcc_lo, 0, v[2:3]
	s_cbranch_vccnz .LBB5_104
; %bb.103:
	global_load_dword v0, v[0:1], off offset:24
	v_mov_b32_e32 v1, 0
	s_waitcnt vmcnt(0)
	v_readfirstlane_b32 s10, v0
	s_waitcnt_vscnt null, 0x0
	global_store_dwordx2 v[2:3], v[0:1], off
	s_and_b32 m0, s10, 0x7fffff
	s_sendmsg sendmsg(MSG_INTERRUPT)
.LBB5_104:
	s_or_b32 exec_lo, exec_lo, s5
	s_branch .LBB5_108
	.p2align	6
.LBB5_105:                              ;   in Loop: Header=BB5_108 Depth=1
	s_or_b32 exec_lo, exec_lo, s5
	v_readfirstlane_b32 s5, v0
	s_cmp_eq_u32 s5, 0
	s_cbranch_scc1 .LBB5_107
; %bb.106:                              ;   in Loop: Header=BB5_108 Depth=1
	s_sleep 1
	s_cbranch_execnz .LBB5_108
	s_branch .LBB5_110
	.p2align	6
.LBB5_107:
	s_branch .LBB5_110
.LBB5_108:                              ; =>This Inner Loop Header: Depth=1
	v_mov_b32_e32 v0, 1
	s_and_saveexec_b32 s5, s4
	s_cbranch_execz .LBB5_105
; %bb.109:                              ;   in Loop: Header=BB5_108 Depth=1
	global_load_dword v0, v[8:9], off offset:20 glc dlc
	s_waitcnt vmcnt(0)
	buffer_gl1_inv
	buffer_gl0_inv
	v_and_b32_e32 v0, 1, v0
	s_branch .LBB5_105
.LBB5_110:
	global_load_dwordx2 v[6:7], v[6:7], off
	s_and_saveexec_b32 s10, s4
	s_cbranch_execz .LBB5_114
; %bb.111:
	v_mov_b32_e32 v8, 0
	s_clause 0x2
	global_load_dwordx2 v[0:1], v8, s[6:7] offset:40
	global_load_dwordx2 v[11:12], v8, s[6:7] offset:24 glc dlc
	global_load_dwordx2 v[2:3], v8, s[6:7]
	s_waitcnt vmcnt(2)
	v_readfirstlane_b32 s12, v0
	v_readfirstlane_b32 s13, v1
	s_add_u32 s11, s12, 1
	s_addc_u32 s14, s13, 0
	s_add_u32 s4, s11, s8
	s_addc_u32 s5, s14, s9
	s_cmp_eq_u64 s[4:5], 0
	s_cselect_b32 s5, s14, s5
	s_cselect_b32 s4, s11, s4
	v_mov_b32_e32 v10, s5
	s_and_b64 s[8:9], s[4:5], s[12:13]
	v_mov_b32_e32 v9, s4
	s_mul_i32 s9, s9, 24
	s_mul_hi_u32 s11, s8, 24
	s_mul_i32 s8, s8, 24
	s_add_i32 s11, s11, s9
	s_waitcnt vmcnt(0)
	v_add_co_u32 v4, vcc_lo, v2, s8
	v_add_co_ci_u32_e64 v5, null, s11, v3, vcc_lo
	global_store_dwordx2 v[4:5], v[11:12], off
	s_waitcnt_vscnt null, 0x0
	global_atomic_cmpswap_x2 v[2:3], v8, v[9:12], s[6:7] offset:24 glc
	s_waitcnt vmcnt(0)
	v_cmp_ne_u64_e32 vcc_lo, v[2:3], v[11:12]
	s_and_b32 exec_lo, exec_lo, vcc_lo
	s_cbranch_execz .LBB5_114
; %bb.112:
	s_mov_b32 s8, 0
.LBB5_113:                              ; =>This Inner Loop Header: Depth=1
	v_mov_b32_e32 v0, s4
	v_mov_b32_e32 v1, s5
	s_sleep 1
	global_store_dwordx2 v[4:5], v[2:3], off
	s_waitcnt_vscnt null, 0x0
	global_atomic_cmpswap_x2 v[0:1], v8, v[0:3], s[6:7] offset:24 glc
	s_waitcnt vmcnt(0)
	v_cmp_eq_u64_e32 vcc_lo, v[0:1], v[2:3]
	v_mov_b32_e32 v3, v1
	v_mov_b32_e32 v2, v0
	s_or_b32 s8, vcc_lo, s8
	s_andn2_b32 exec_lo, exec_lo, s8
	s_cbranch_execnz .LBB5_113
.LBB5_114:
	s_or_b32 exec_lo, exec_lo, s10
	s_waitcnt vmcnt(0)
	v_mov_b32_e32 v0, v6
	v_mov_b32_e32 v1, v7
	s_waitcnt lgkmcnt(0)
	s_setpc_b64 s[30:31]
.Lfunc_end5:
	.size	__ockl_printf_append_string_n, .Lfunc_end5-__ockl_printf_append_string_n
                                        ; -- End function
	.set .L__ockl_printf_append_string_n.num_vgpr, 39
	.set .L__ockl_printf_append_string_n.num_agpr, 0
	.set .L__ockl_printf_append_string_n.numbered_sgpr, 32
	.set .L__ockl_printf_append_string_n.num_named_barrier, 0
	.set .L__ockl_printf_append_string_n.private_seg_size, 0
	.set .L__ockl_printf_append_string_n.uses_vcc, 1
	.set .L__ockl_printf_append_string_n.uses_flat_scratch, 0
	.set .L__ockl_printf_append_string_n.has_dyn_sized_stack, 0
	.set .L__ockl_printf_append_string_n.has_recursion, 0
	.set .L__ockl_printf_append_string_n.has_indirect_call, 0
	.section	.AMDGPU.csdata,"",@progbits
; Function info:
; codeLenInByte = 4600
; TotalNumSgprs: 34
; NumVgprs: 39
; ScratchSize: 0
; MemoryBound: 0
	.text
	.p2align	2                               ; -- Begin function __ockl_printf_append_args
	.type	__ockl_printf_append_args,@function
__ockl_printf_append_args:              ; @__ockl_printf_append_args
; %bb.0:
	s_waitcnt vmcnt(0) expcnt(0) lgkmcnt(0)
	s_load_dwordx2 s[6:7], s[8:9], 0x50
	v_mbcnt_lo_u32_b32 v15, -1, 0
	v_mov_b32_e32 v11, 0
	v_mov_b32_e32 v12, 0
	v_readfirstlane_b32 s4, v15
	v_cmp_eq_u32_e64 s4, s4, v15
	s_and_saveexec_b32 s5, s4
	s_cbranch_execz .LBB6_6
; %bb.1:
	v_mov_b32_e32 v5, 0
	s_mov_b32 s8, exec_lo
	s_waitcnt lgkmcnt(0)
	global_load_dwordx2 v[8:9], v5, s[6:7] offset:24 glc dlc
	s_waitcnt vmcnt(0)
	buffer_gl1_inv
	buffer_gl0_inv
	s_clause 0x1
	global_load_dwordx2 v[6:7], v5, s[6:7] offset:40
	global_load_dwordx2 v[10:11], v5, s[6:7]
	s_waitcnt vmcnt(1)
	v_and_b32_e32 v7, v7, v9
	v_and_b32_e32 v6, v6, v8
	v_mul_lo_u32 v7, v7, 24
	v_mul_hi_u32 v12, v6, 24
	v_mul_lo_u32 v6, v6, 24
	v_add_nc_u32_e32 v7, v12, v7
	s_waitcnt vmcnt(0)
	v_add_co_u32 v6, vcc_lo, v10, v6
	v_add_co_ci_u32_e64 v7, null, v11, v7, vcc_lo
	global_load_dwordx2 v[6:7], v[6:7], off glc dlc
	s_waitcnt vmcnt(0)
	global_atomic_cmpswap_x2 v[11:12], v5, v[6:9], s[6:7] offset:24 glc
	s_waitcnt vmcnt(0)
	buffer_gl1_inv
	buffer_gl0_inv
	v_cmpx_ne_u64_e64 v[11:12], v[8:9]
	s_cbranch_execz .LBB6_5
; %bb.2:
	s_mov_b32 s9, 0
	.p2align	6
.LBB6_3:                                ; =>This Inner Loop Header: Depth=1
	s_sleep 1
	s_clause 0x1
	global_load_dwordx2 v[6:7], v5, s[6:7] offset:40
	global_load_dwordx2 v[13:14], v5, s[6:7]
	v_mov_b32_e32 v8, v11
	v_mov_b32_e32 v9, v12
	s_waitcnt vmcnt(1)
	v_and_b32_e32 v6, v6, v8
	v_and_b32_e32 v7, v7, v9
	s_waitcnt vmcnt(0)
	v_mad_u64_u32 v[10:11], null, v6, 24, v[13:14]
	v_mov_b32_e32 v6, v11
	v_mad_u64_u32 v[6:7], null, v7, 24, v[6:7]
	v_mov_b32_e32 v11, v6
	global_load_dwordx2 v[6:7], v[10:11], off glc dlc
	s_waitcnt vmcnt(0)
	global_atomic_cmpswap_x2 v[11:12], v5, v[6:9], s[6:7] offset:24 glc
	s_waitcnt vmcnt(0)
	buffer_gl1_inv
	buffer_gl0_inv
	v_cmp_eq_u64_e32 vcc_lo, v[11:12], v[8:9]
	s_or_b32 s9, vcc_lo, s9
	s_andn2_b32 exec_lo, exec_lo, s9
	s_cbranch_execnz .LBB6_3
; %bb.4:
	s_or_b32 exec_lo, exec_lo, s9
.LBB6_5:
	s_or_b32 exec_lo, exec_lo, s8
.LBB6_6:
	s_or_b32 exec_lo, exec_lo, s5
	v_mov_b32_e32 v10, 0
	v_readfirstlane_b32 s9, v12
	v_readfirstlane_b32 s8, v11
	s_mov_b32 s5, exec_lo
	s_waitcnt lgkmcnt(0)
	s_clause 0x1
	global_load_dwordx2 v[13:14], v10, s[6:7] offset:40
	global_load_dwordx4 v[5:8], v10, s[6:7]
	s_waitcnt vmcnt(1)
	v_readfirstlane_b32 s10, v13
	v_readfirstlane_b32 s11, v14
	s_and_b64 s[10:11], s[10:11], s[8:9]
	s_mul_i32 s12, s11, 24
	s_mul_hi_u32 s13, s10, 24
	s_mul_i32 s14, s10, 24
	s_add_i32 s13, s13, s12
	s_waitcnt vmcnt(0)
	v_add_co_u32 v13, vcc_lo, v5, s14
	v_add_co_ci_u32_e64 v14, null, s13, v6, vcc_lo
	s_and_saveexec_b32 s12, s4
	s_cbranch_execz .LBB6_8
; %bb.7:
	v_mov_b32_e32 v9, s5
	v_mov_b32_e32 v11, 2
	;; [unrolled: 1-line block ×3, first 2 shown]
	global_store_dwordx4 v[13:14], v[9:12], off offset:8
.LBB6_8:
	s_or_b32 exec_lo, exec_lo, s12
	v_or_b32_e32 v9, 2, v0
	v_cmp_eq_u32_e32 vcc_lo, 0, v4
	s_lshl_b64 s[10:11], s[10:11], 12
	s_mov_b32 s12, 0
	v_lshlrev_b32_e32 v11, 6, v15
	s_mov_b32 s13, s12
	v_cndmask_b32_e32 v0, v9, v0, vcc_lo
	v_add_co_u32 v4, vcc_lo, v7, s10
	v_add_co_ci_u32_e64 v7, null, s11, v8, vcc_lo
	s_mov_b32 s14, s12
	s_mov_b32 s15, s12
	v_and_or_b32 v0, 0xffffff1f, v0, 32
	v_readfirstlane_b32 s10, v4
	v_readfirstlane_b32 s11, v7
	v_mov_b32_e32 v7, s12
	v_mov_b32_e32 v8, s13
	;; [unrolled: 1-line block ×4, first 2 shown]
	global_store_dwordx4 v11, v[0:3], s[10:11]
	global_store_dwordx4 v11, v[7:10], s[10:11] offset:16
	global_store_dwordx4 v11, v[7:10], s[10:11] offset:32
	;; [unrolled: 1-line block ×3, first 2 shown]
	s_and_saveexec_b32 s5, s4
	s_cbranch_execz .LBB6_16
; %bb.9:
	v_mov_b32_e32 v7, 0
	v_mov_b32_e32 v8, s8
	;; [unrolled: 1-line block ×3, first 2 shown]
	s_mov_b32 s10, exec_lo
	s_clause 0x1
	global_load_dwordx2 v[10:11], v7, s[6:7] offset:32 glc dlc
	global_load_dwordx2 v[0:1], v7, s[6:7] offset:40
	s_waitcnt vmcnt(0)
	v_and_b32_e32 v1, s9, v1
	v_and_b32_e32 v0, s8, v0
	v_mul_lo_u32 v1, v1, 24
	v_mul_hi_u32 v2, v0, 24
	v_mul_lo_u32 v0, v0, 24
	v_add_nc_u32_e32 v1, v2, v1
	v_add_co_u32 v4, vcc_lo, v5, v0
	v_add_co_ci_u32_e64 v5, null, v6, v1, vcc_lo
	global_store_dwordx2 v[4:5], v[10:11], off
	s_waitcnt_vscnt null, 0x0
	global_atomic_cmpswap_x2 v[2:3], v7, v[8:11], s[6:7] offset:32 glc
	s_waitcnt vmcnt(0)
	v_cmpx_ne_u64_e64 v[2:3], v[10:11]
	s_cbranch_execz .LBB6_12
; %bb.10:
	s_mov_b32 s11, 0
.LBB6_11:                               ; =>This Inner Loop Header: Depth=1
	v_mov_b32_e32 v0, s8
	v_mov_b32_e32 v1, s9
	s_sleep 1
	global_store_dwordx2 v[4:5], v[2:3], off
	s_waitcnt_vscnt null, 0x0
	global_atomic_cmpswap_x2 v[0:1], v7, v[0:3], s[6:7] offset:32 glc
	s_waitcnt vmcnt(0)
	v_cmp_eq_u64_e32 vcc_lo, v[0:1], v[2:3]
	v_mov_b32_e32 v3, v1
	v_mov_b32_e32 v2, v0
	s_or_b32 s11, vcc_lo, s11
	s_andn2_b32 exec_lo, exec_lo, s11
	s_cbranch_execnz .LBB6_11
.LBB6_12:
	s_or_b32 exec_lo, exec_lo, s10
	v_mov_b32_e32 v3, 0
	s_mov_b32 s11, exec_lo
	s_mov_b32 s10, exec_lo
	v_mbcnt_lo_u32_b32 v2, s11, 0
	global_load_dwordx2 v[0:1], v3, s[6:7] offset:16
	v_cmpx_eq_u32_e32 0, v2
	s_cbranch_execz .LBB6_14
; %bb.13:
	s_bcnt1_i32_b32 s11, s11
	v_mov_b32_e32 v2, s11
	s_waitcnt vmcnt(0)
	global_atomic_add_x2 v[0:1], v[2:3], off offset:8
.LBB6_14:
	s_or_b32 exec_lo, exec_lo, s10
	s_waitcnt vmcnt(0)
	global_load_dwordx2 v[2:3], v[0:1], off offset:16
	s_waitcnt vmcnt(0)
	v_cmp_eq_u64_e32 vcc_lo, 0, v[2:3]
	s_cbranch_vccnz .LBB6_16
; %bb.15:
	global_load_dword v0, v[0:1], off offset:24
	v_mov_b32_e32 v1, 0
	s_waitcnt vmcnt(0)
	v_readfirstlane_b32 s10, v0
	s_waitcnt_vscnt null, 0x0
	global_store_dwordx2 v[2:3], v[0:1], off
	s_and_b32 m0, s10, 0x7fffff
	s_sendmsg sendmsg(MSG_INTERRUPT)
.LBB6_16:
	s_or_b32 exec_lo, exec_lo, s5
	s_branch .LBB6_20
	.p2align	6
.LBB6_17:                               ;   in Loop: Header=BB6_20 Depth=1
	s_or_b32 exec_lo, exec_lo, s5
	v_readfirstlane_b32 s5, v0
	s_cmp_eq_u32 s5, 0
	s_cbranch_scc1 .LBB6_19
; %bb.18:                               ;   in Loop: Header=BB6_20 Depth=1
	s_sleep 1
	s_cbranch_execnz .LBB6_20
	s_branch .LBB6_22
	.p2align	6
.LBB6_19:
	s_branch .LBB6_22
.LBB6_20:                               ; =>This Inner Loop Header: Depth=1
	v_mov_b32_e32 v0, 1
	s_and_saveexec_b32 s5, s4
	s_cbranch_execz .LBB6_17
; %bb.21:                               ;   in Loop: Header=BB6_20 Depth=1
	global_load_dword v0, v[13:14], off offset:20 glc dlc
	s_waitcnt vmcnt(0)
	buffer_gl1_inv
	buffer_gl0_inv
	v_and_b32_e32 v0, 1, v0
	s_branch .LBB6_17
.LBB6_22:
	s_and_saveexec_b32 s10, s4
	s_cbranch_execz .LBB6_26
; %bb.23:
	v_mov_b32_e32 v6, 0
	s_clause 0x2
	global_load_dwordx2 v[0:1], v6, s[6:7] offset:40
	global_load_dwordx2 v[9:10], v6, s[6:7] offset:24 glc dlc
	global_load_dwordx2 v[2:3], v6, s[6:7]
	s_waitcnt vmcnt(2)
	v_readfirstlane_b32 s12, v0
	v_readfirstlane_b32 s13, v1
	s_add_u32 s11, s12, 1
	s_addc_u32 s14, s13, 0
	s_add_u32 s4, s11, s8
	s_addc_u32 s5, s14, s9
	s_cmp_eq_u64 s[4:5], 0
	s_cselect_b32 s5, s14, s5
	s_cselect_b32 s4, s11, s4
	v_mov_b32_e32 v8, s5
	s_and_b64 s[8:9], s[4:5], s[12:13]
	v_mov_b32_e32 v7, s4
	s_mul_i32 s9, s9, 24
	s_mul_hi_u32 s11, s8, 24
	s_mul_i32 s8, s8, 24
	s_add_i32 s11, s11, s9
	s_waitcnt vmcnt(0)
	v_add_co_u32 v4, vcc_lo, v2, s8
	v_add_co_ci_u32_e64 v5, null, s11, v3, vcc_lo
	global_store_dwordx2 v[4:5], v[9:10], off
	s_waitcnt_vscnt null, 0x0
	global_atomic_cmpswap_x2 v[2:3], v6, v[7:10], s[6:7] offset:24 glc
	s_waitcnt vmcnt(0)
	v_cmp_ne_u64_e32 vcc_lo, v[2:3], v[9:10]
	s_and_b32 exec_lo, exec_lo, vcc_lo
	s_cbranch_execz .LBB6_26
; %bb.24:
	s_mov_b32 s8, 0
.LBB6_25:                               ; =>This Inner Loop Header: Depth=1
	v_mov_b32_e32 v0, s4
	v_mov_b32_e32 v1, s5
	s_sleep 1
	global_store_dwordx2 v[4:5], v[2:3], off
	s_waitcnt_vscnt null, 0x0
	global_atomic_cmpswap_x2 v[0:1], v6, v[0:3], s[6:7] offset:24 glc
	s_waitcnt vmcnt(0)
	v_cmp_eq_u64_e32 vcc_lo, v[0:1], v[2:3]
	v_mov_b32_e32 v3, v1
	v_mov_b32_e32 v2, v0
	s_or_b32 s8, vcc_lo, s8
	s_andn2_b32 exec_lo, exec_lo, s8
	s_cbranch_execnz .LBB6_25
.LBB6_26:
	s_or_b32 exec_lo, exec_lo, s10
	s_waitcnt lgkmcnt(0)
	s_setpc_b64 s[30:31]
.Lfunc_end6:
	.size	__ockl_printf_append_args, .Lfunc_end6-__ockl_printf_append_args
                                        ; -- End function
	.set .L__ockl_printf_append_args.num_vgpr, 16
	.set .L__ockl_printf_append_args.num_agpr, 0
	.set .L__ockl_printf_append_args.numbered_sgpr, 32
	.set .L__ockl_printf_append_args.num_named_barrier, 0
	.set .L__ockl_printf_append_args.private_seg_size, 0
	.set .L__ockl_printf_append_args.uses_vcc, 1
	.set .L__ockl_printf_append_args.uses_flat_scratch, 0
	.set .L__ockl_printf_append_args.has_dyn_sized_stack, 0
	.set .L__ockl_printf_append_args.has_recursion, 0
	.set .L__ockl_printf_append_args.has_indirect_call, 0
	.section	.AMDGPU.csdata,"",@progbits
; Function info:
; codeLenInByte = 1380
; TotalNumSgprs: 34
; NumVgprs: 16
; ScratchSize: 0
; MemoryBound: 0
	.text
	.p2align	2                               ; -- Begin function _ZL14no_device_codePKciS0_iS0_
	.type	_ZL14no_device_codePKciS0_iS0_,@function
_ZL14no_device_codePKciS0_iS0_:         ; @_ZL14no_device_codePKciS0_iS0_
; %bb.0:
	s_waitcnt vmcnt(0) expcnt(0) lgkmcnt(0)
	s_mov_b32 s24, s33
	s_mov_b32 s33, s32
	s_xor_saveexec_b32 s4, -1
	buffer_store_dword v39, off, s[0:3], s33 ; 4-byte Folded Spill
	s_mov_b32 exec_lo, s4
	v_writelane_b32 v39, s30, 0
	s_addk_i32 s32, 0x200
	v_writelane_b32 v39, s31, 1
	s_load_dwordx2 s[6:7], s[8:9], 0x50
	v_mbcnt_lo_u32_b32 v29, -1, 0
	v_mov_b32_e32 v6, 0
	v_mov_b32_e32 v7, 0
	v_readfirstlane_b32 s4, v29
	v_cmp_eq_u32_e64 s4, s4, v29
	s_and_saveexec_b32 s5, s4
	s_cbranch_execz .LBB7_6
; %bb.1:
	v_mov_b32_e32 v0, 0
	s_mov_b32 s10, exec_lo
	s_waitcnt lgkmcnt(0)
	global_load_dwordx2 v[3:4], v0, s[6:7] offset:24 glc dlc
	s_waitcnt vmcnt(0)
	buffer_gl1_inv
	buffer_gl0_inv
	s_clause 0x1
	global_load_dwordx2 v[1:2], v0, s[6:7] offset:40
	global_load_dwordx2 v[5:6], v0, s[6:7]
	s_waitcnt vmcnt(1)
	v_and_b32_e32 v2, v2, v4
	v_and_b32_e32 v1, v1, v3
	v_mul_lo_u32 v2, v2, 24
	v_mul_hi_u32 v7, v1, 24
	v_mul_lo_u32 v1, v1, 24
	v_add_nc_u32_e32 v2, v7, v2
	s_waitcnt vmcnt(0)
	v_add_co_u32 v1, vcc_lo, v5, v1
	v_add_co_ci_u32_e64 v2, null, v6, v2, vcc_lo
	global_load_dwordx2 v[1:2], v[1:2], off glc dlc
	s_waitcnt vmcnt(0)
	global_atomic_cmpswap_x2 v[6:7], v0, v[1:4], s[6:7] offset:24 glc
	s_waitcnt vmcnt(0)
	buffer_gl1_inv
	buffer_gl0_inv
	v_cmpx_ne_u64_e64 v[6:7], v[3:4]
	s_cbranch_execz .LBB7_5
; %bb.2:
	s_mov_b32 s11, 0
	.p2align	6
.LBB7_3:                                ; =>This Inner Loop Header: Depth=1
	s_sleep 1
	s_clause 0x1
	global_load_dwordx2 v[1:2], v0, s[6:7] offset:40
	global_load_dwordx2 v[8:9], v0, s[6:7]
	v_mov_b32_e32 v3, v6
	v_mov_b32_e32 v4, v7
	s_waitcnt vmcnt(1)
	v_and_b32_e32 v1, v1, v3
	v_and_b32_e32 v2, v2, v4
	s_waitcnt vmcnt(0)
	v_mad_u64_u32 v[5:6], null, v1, 24, v[8:9]
	v_mov_b32_e32 v1, v6
	v_mad_u64_u32 v[1:2], null, v2, 24, v[1:2]
	v_mov_b32_e32 v6, v1
	global_load_dwordx2 v[1:2], v[5:6], off glc dlc
	s_waitcnt vmcnt(0)
	global_atomic_cmpswap_x2 v[6:7], v0, v[1:4], s[6:7] offset:24 glc
	s_waitcnt vmcnt(0)
	buffer_gl1_inv
	buffer_gl0_inv
	v_cmp_eq_u64_e32 vcc_lo, v[6:7], v[3:4]
	s_or_b32 s11, vcc_lo, s11
	s_andn2_b32 exec_lo, exec_lo, s11
	s_cbranch_execnz .LBB7_3
; %bb.4:
	s_or_b32 exec_lo, exec_lo, s11
.LBB7_5:
	s_or_b32 exec_lo, exec_lo, s10
.LBB7_6:
	s_or_b32 exec_lo, exec_lo, s5
	v_mov_b32_e32 v5, 0
	v_readfirstlane_b32 s11, v7
	v_readfirstlane_b32 s10, v6
	s_mov_b32 s5, exec_lo
	s_waitcnt lgkmcnt(0)
	s_clause 0x1
	global_load_dwordx2 v[8:9], v5, s[6:7] offset:40
	global_load_dwordx4 v[0:3], v5, s[6:7]
	s_waitcnt vmcnt(1)
	v_readfirstlane_b32 s12, v8
	v_readfirstlane_b32 s13, v9
	s_and_b64 s[12:13], s[12:13], s[10:11]
	s_mul_i32 s14, s13, 24
	s_mul_hi_u32 s15, s12, 24
	s_mul_i32 s16, s12, 24
	s_add_i32 s15, s15, s14
	s_waitcnt vmcnt(0)
	v_add_co_u32 v8, vcc_lo, v0, s16
	v_add_co_ci_u32_e64 v9, null, s15, v1, vcc_lo
	s_and_saveexec_b32 s14, s4
	s_cbranch_execz .LBB7_8
; %bb.7:
	v_mov_b32_e32 v4, s5
	v_mov_b32_e32 v6, 2
	;; [unrolled: 1-line block ×3, first 2 shown]
	global_store_dwordx4 v[8:9], v[4:7], off offset:8
.LBB7_8:
	s_or_b32 exec_lo, exec_lo, s14
	s_lshl_b64 s[12:13], s[12:13], 12
	v_lshlrev_b32_e32 v28, 6, v29
	v_add_co_u32 v2, vcc_lo, v2, s12
	v_add_co_ci_u32_e64 v3, null, s13, v3, vcc_lo
	s_mov_b32 s12, 0
	v_add_co_u32 v10, vcc_lo, v2, v28
	s_mov_b32 s13, s12
	s_mov_b32 s14, s12
	;; [unrolled: 1-line block ×3, first 2 shown]
	v_mov_b32_e32 v4, 33
	v_mov_b32_e32 v6, v5
	;; [unrolled: 1-line block ×3, first 2 shown]
	v_readfirstlane_b32 s16, v2
	v_readfirstlane_b32 s17, v3
	v_mov_b32_e32 v12, s12
	v_add_co_ci_u32_e64 v11, null, 0, v3, vcc_lo
	v_mov_b32_e32 v13, s13
	v_mov_b32_e32 v14, s14
	;; [unrolled: 1-line block ×3, first 2 shown]
	global_store_dwordx4 v28, v[4:7], s[16:17]
	global_store_dwordx4 v28, v[12:15], s[16:17] offset:16
	global_store_dwordx4 v28, v[12:15], s[16:17] offset:32
	;; [unrolled: 1-line block ×3, first 2 shown]
	s_and_saveexec_b32 s5, s4
	s_cbranch_execz .LBB7_16
; %bb.9:
	v_mov_b32_e32 v6, 0
	v_mov_b32_e32 v12, s10
	;; [unrolled: 1-line block ×3, first 2 shown]
	s_mov_b32 s12, exec_lo
	s_clause 0x1
	global_load_dwordx2 v[14:15], v6, s[6:7] offset:32 glc dlc
	global_load_dwordx2 v[2:3], v6, s[6:7] offset:40
	s_waitcnt vmcnt(0)
	v_and_b32_e32 v3, s11, v3
	v_and_b32_e32 v2, s10, v2
	v_mul_lo_u32 v3, v3, 24
	v_mul_hi_u32 v4, v2, 24
	v_mul_lo_u32 v2, v2, 24
	v_add_nc_u32_e32 v3, v4, v3
	v_add_co_u32 v4, vcc_lo, v0, v2
	v_add_co_ci_u32_e64 v5, null, v1, v3, vcc_lo
	global_store_dwordx2 v[4:5], v[14:15], off
	s_waitcnt_vscnt null, 0x0
	global_atomic_cmpswap_x2 v[2:3], v6, v[12:15], s[6:7] offset:32 glc
	s_waitcnt vmcnt(0)
	v_cmpx_ne_u64_e64 v[2:3], v[14:15]
	s_cbranch_execz .LBB7_12
; %bb.10:
	s_mov_b32 s13, 0
.LBB7_11:                               ; =>This Inner Loop Header: Depth=1
	v_mov_b32_e32 v0, s10
	v_mov_b32_e32 v1, s11
	s_sleep 1
	global_store_dwordx2 v[4:5], v[2:3], off
	s_waitcnt_vscnt null, 0x0
	global_atomic_cmpswap_x2 v[0:1], v6, v[0:3], s[6:7] offset:32 glc
	s_waitcnt vmcnt(0)
	v_cmp_eq_u64_e32 vcc_lo, v[0:1], v[2:3]
	v_mov_b32_e32 v3, v1
	v_mov_b32_e32 v2, v0
	s_or_b32 s13, vcc_lo, s13
	s_andn2_b32 exec_lo, exec_lo, s13
	s_cbranch_execnz .LBB7_11
.LBB7_12:
	s_or_b32 exec_lo, exec_lo, s12
	v_mov_b32_e32 v3, 0
	s_mov_b32 s13, exec_lo
	s_mov_b32 s12, exec_lo
	v_mbcnt_lo_u32_b32 v2, s13, 0
	global_load_dwordx2 v[0:1], v3, s[6:7] offset:16
	v_cmpx_eq_u32_e32 0, v2
	s_cbranch_execz .LBB7_14
; %bb.13:
	s_bcnt1_i32_b32 s13, s13
	v_mov_b32_e32 v2, s13
	s_waitcnt vmcnt(0)
	global_atomic_add_x2 v[0:1], v[2:3], off offset:8
.LBB7_14:
	s_or_b32 exec_lo, exec_lo, s12
	s_waitcnt vmcnt(0)
	global_load_dwordx2 v[2:3], v[0:1], off offset:16
	s_waitcnt vmcnt(0)
	v_cmp_eq_u64_e32 vcc_lo, 0, v[2:3]
	s_cbranch_vccnz .LBB7_16
; %bb.15:
	global_load_dword v0, v[0:1], off offset:24
	v_mov_b32_e32 v1, 0
	s_waitcnt vmcnt(0)
	v_readfirstlane_b32 s12, v0
	s_waitcnt_vscnt null, 0x0
	global_store_dwordx2 v[2:3], v[0:1], off
	s_and_b32 m0, s12, 0x7fffff
	s_sendmsg sendmsg(MSG_INTERRUPT)
.LBB7_16:
	s_or_b32 exec_lo, exec_lo, s5
	s_branch .LBB7_20
	.p2align	6
.LBB7_17:                               ;   in Loop: Header=BB7_20 Depth=1
	s_or_b32 exec_lo, exec_lo, s5
	v_readfirstlane_b32 s5, v0
	s_cmp_eq_u32 s5, 0
	s_cbranch_scc1 .LBB7_19
; %bb.18:                               ;   in Loop: Header=BB7_20 Depth=1
	s_sleep 1
	s_cbranch_execnz .LBB7_20
	s_branch .LBB7_22
	.p2align	6
.LBB7_19:
	s_branch .LBB7_22
.LBB7_20:                               ; =>This Inner Loop Header: Depth=1
	v_mov_b32_e32 v0, 1
	s_and_saveexec_b32 s5, s4
	s_cbranch_execz .LBB7_17
; %bb.21:                               ;   in Loop: Header=BB7_20 Depth=1
	global_load_dword v0, v[8:9], off offset:20 glc dlc
	s_waitcnt vmcnt(0)
	buffer_gl1_inv
	buffer_gl0_inv
	v_and_b32_e32 v0, 1, v0
	s_branch .LBB7_17
.LBB7_22:
	global_load_dwordx2 v[4:5], v[10:11], off
	s_and_saveexec_b32 s12, s4
	s_cbranch_execz .LBB7_26
; %bb.23:
	v_mov_b32_e32 v8, 0
	s_clause 0x2
	global_load_dwordx2 v[0:1], v8, s[6:7] offset:40
	global_load_dwordx2 v[11:12], v8, s[6:7] offset:24 glc dlc
	global_load_dwordx2 v[2:3], v8, s[6:7]
	s_waitcnt vmcnt(2)
	v_readfirstlane_b32 s14, v0
	v_readfirstlane_b32 s15, v1
	s_add_u32 s13, s14, 1
	s_addc_u32 s16, s15, 0
	s_add_u32 s4, s13, s10
	s_addc_u32 s5, s16, s11
	s_cmp_eq_u64 s[4:5], 0
	s_cselect_b32 s5, s16, s5
	s_cselect_b32 s4, s13, s4
	v_mov_b32_e32 v10, s5
	s_and_b64 s[10:11], s[4:5], s[14:15]
	v_mov_b32_e32 v9, s4
	s_mul_i32 s11, s11, 24
	s_mul_hi_u32 s13, s10, 24
	s_mul_i32 s10, s10, 24
	s_add_i32 s13, s13, s11
	s_waitcnt vmcnt(0)
	v_add_co_u32 v6, vcc_lo, v2, s10
	v_add_co_ci_u32_e64 v7, null, s13, v3, vcc_lo
	global_store_dwordx2 v[6:7], v[11:12], off
	s_waitcnt_vscnt null, 0x0
	global_atomic_cmpswap_x2 v[2:3], v8, v[9:12], s[6:7] offset:24 glc
	s_waitcnt vmcnt(0)
	v_cmp_ne_u64_e32 vcc_lo, v[2:3], v[11:12]
	s_and_b32 exec_lo, exec_lo, vcc_lo
	s_cbranch_execz .LBB7_26
; %bb.24:
	s_mov_b32 s10, 0
.LBB7_25:                               ; =>This Inner Loop Header: Depth=1
	v_mov_b32_e32 v0, s4
	v_mov_b32_e32 v1, s5
	s_sleep 1
	global_store_dwordx2 v[6:7], v[2:3], off
	s_waitcnt_vscnt null, 0x0
	global_atomic_cmpswap_x2 v[0:1], v8, v[0:3], s[6:7] offset:24 glc
	s_waitcnt vmcnt(0)
	v_cmp_eq_u64_e32 vcc_lo, v[0:1], v[2:3]
	v_mov_b32_e32 v3, v1
	v_mov_b32_e32 v2, v0
	s_or_b32 s10, vcc_lo, s10
	s_andn2_b32 exec_lo, exec_lo, s10
	s_cbranch_execnz .LBB7_25
.LBB7_26:
	s_or_b32 exec_lo, exec_lo, s12
	s_getpc_b64 s[10:11]
	s_add_u32 s10, s10, .str.5@rel32@lo+4
	s_addc_u32 s11, s11, .str.5@rel32@hi+12
	s_cmp_lg_u64 s[10:11], 0
	s_cbranch_scc0 .LBB7_104
; %bb.27:
	s_waitcnt vmcnt(0)
	v_and_b32_e32 v30, 2, v4
	v_mov_b32_e32 v7, 0
	v_and_b32_e32 v0, -3, v4
	v_mov_b32_e32 v1, v5
	v_mov_b32_e32 v8, 2
	;; [unrolled: 1-line block ×3, first 2 shown]
	s_mov_b64 s[12:13], 0x4d
	s_branch .LBB7_29
.LBB7_28:                               ;   in Loop: Header=BB7_29 Depth=1
	s_or_b32 exec_lo, exec_lo, s18
	s_sub_u32 s12, s12, s14
	s_subb_u32 s13, s13, s15
	s_add_u32 s10, s10, s14
	s_addc_u32 s11, s11, s15
	s_cmp_lg_u64 s[12:13], 0
	s_cbranch_scc0 .LBB7_105
.LBB7_29:                               ; =>This Loop Header: Depth=1
                                        ;     Child Loop BB7_32 Depth 2
                                        ;     Child Loop BB7_39 Depth 2
	;; [unrolled: 1-line block ×11, first 2 shown]
	v_cmp_lt_u64_e64 s4, s[12:13], 56
	v_cmp_gt_u64_e64 s16, s[12:13], 7
	s_and_b32 s4, s4, exec_lo
	s_cselect_b32 s15, s13, 0
	s_cselect_b32 s14, s12, 56
	s_add_u32 s4, s10, 8
	s_addc_u32 s5, s11, 0
	s_and_b32 vcc_lo, exec_lo, s16
	s_cbranch_vccnz .LBB7_34
; %bb.30:                               ;   in Loop: Header=BB7_29 Depth=1
	v_mov_b32_e32 v2, 0
	v_mov_b32_e32 v3, 0
	s_cmp_eq_u64 s[12:13], 0
	s_cbranch_scc1 .LBB7_33
; %bb.31:                               ;   in Loop: Header=BB7_29 Depth=1
	s_lshl_b64 s[4:5], s[14:15], 3
	s_mov_b64 s[16:17], 0
	s_mov_b64 s[18:19], s[10:11]
.LBB7_32:                               ;   Parent Loop BB7_29 Depth=1
                                        ; =>  This Inner Loop Header: Depth=2
	global_load_ubyte v6, v7, s[18:19]
	s_waitcnt vmcnt(0)
	v_and_b32_e32 v6, 0xffff, v6
	v_lshlrev_b64 v[10:11], s16, v[6:7]
	s_add_u32 s16, s16, 8
	s_addc_u32 s17, s17, 0
	s_add_u32 s18, s18, 1
	s_addc_u32 s19, s19, 0
	s_cmp_lg_u32 s4, s16
	v_or_b32_e32 v2, v10, v2
	v_or_b32_e32 v3, v11, v3
	s_cbranch_scc1 .LBB7_32
.LBB7_33:                               ;   in Loop: Header=BB7_29 Depth=1
	s_mov_b64 s[4:5], s[10:11]
	s_mov_b32 s20, 0
	s_cbranch_execz .LBB7_35
	s_branch .LBB7_36
.LBB7_34:                               ;   in Loop: Header=BB7_29 Depth=1
	s_mov_b32 s20, 0
.LBB7_35:                               ;   in Loop: Header=BB7_29 Depth=1
	global_load_dwordx2 v[2:3], v7, s[10:11]
	s_add_i32 s20, s14, -8
.LBB7_36:                               ;   in Loop: Header=BB7_29 Depth=1
	s_add_u32 s16, s4, 8
	s_addc_u32 s17, s5, 0
	s_cmp_gt_u32 s20, 7
	s_cbranch_scc1 .LBB7_41
; %bb.37:                               ;   in Loop: Header=BB7_29 Depth=1
	v_mov_b32_e32 v10, 0
	v_mov_b32_e32 v11, 0
	s_cmp_eq_u32 s20, 0
	s_cbranch_scc1 .LBB7_40
; %bb.38:                               ;   in Loop: Header=BB7_29 Depth=1
	s_mov_b64 s[16:17], 0
	s_mov_b64 s[18:19], 0
.LBB7_39:                               ;   Parent Loop BB7_29 Depth=1
                                        ; =>  This Inner Loop Header: Depth=2
	s_add_u32 s22, s4, s18
	s_addc_u32 s23, s5, s19
	s_add_u32 s18, s18, 1
	global_load_ubyte v6, v7, s[22:23]
	s_addc_u32 s19, s19, 0
	s_waitcnt vmcnt(0)
	v_and_b32_e32 v6, 0xffff, v6
	v_lshlrev_b64 v[12:13], s16, v[6:7]
	s_add_u32 s16, s16, 8
	s_addc_u32 s17, s17, 0
	s_cmp_lg_u32 s20, s18
	v_or_b32_e32 v10, v12, v10
	v_or_b32_e32 v11, v13, v11
	s_cbranch_scc1 .LBB7_39
.LBB7_40:                               ;   in Loop: Header=BB7_29 Depth=1
	s_mov_b64 s[16:17], s[4:5]
	s_mov_b32 s21, 0
	s_cbranch_execz .LBB7_42
	s_branch .LBB7_43
.LBB7_41:                               ;   in Loop: Header=BB7_29 Depth=1
                                        ; implicit-def: $vgpr10_vgpr11
	s_mov_b32 s21, 0
.LBB7_42:                               ;   in Loop: Header=BB7_29 Depth=1
	global_load_dwordx2 v[10:11], v7, s[4:5]
	s_add_i32 s21, s20, -8
.LBB7_43:                               ;   in Loop: Header=BB7_29 Depth=1
	s_add_u32 s4, s16, 8
	s_addc_u32 s5, s17, 0
	s_cmp_gt_u32 s21, 7
	s_cbranch_scc1 .LBB7_48
; %bb.44:                               ;   in Loop: Header=BB7_29 Depth=1
	v_mov_b32_e32 v12, 0
	v_mov_b32_e32 v13, 0
	s_cmp_eq_u32 s21, 0
	s_cbranch_scc1 .LBB7_47
; %bb.45:                               ;   in Loop: Header=BB7_29 Depth=1
	s_mov_b64 s[4:5], 0
	s_mov_b64 s[18:19], 0
.LBB7_46:                               ;   Parent Loop BB7_29 Depth=1
                                        ; =>  This Inner Loop Header: Depth=2
	s_add_u32 s22, s16, s18
	s_addc_u32 s23, s17, s19
	s_add_u32 s18, s18, 1
	global_load_ubyte v6, v7, s[22:23]
	s_addc_u32 s19, s19, 0
	s_waitcnt vmcnt(0)
	v_and_b32_e32 v6, 0xffff, v6
	v_lshlrev_b64 v[14:15], s4, v[6:7]
	s_add_u32 s4, s4, 8
	s_addc_u32 s5, s5, 0
	s_cmp_lg_u32 s21, s18
	v_or_b32_e32 v12, v14, v12
	v_or_b32_e32 v13, v15, v13
	s_cbranch_scc1 .LBB7_46
.LBB7_47:                               ;   in Loop: Header=BB7_29 Depth=1
	s_mov_b64 s[4:5], s[16:17]
	s_mov_b32 s20, 0
	s_cbranch_execz .LBB7_49
	s_branch .LBB7_50
.LBB7_48:                               ;   in Loop: Header=BB7_29 Depth=1
	s_mov_b32 s20, 0
.LBB7_49:                               ;   in Loop: Header=BB7_29 Depth=1
	global_load_dwordx2 v[12:13], v7, s[16:17]
	s_add_i32 s20, s21, -8
.LBB7_50:                               ;   in Loop: Header=BB7_29 Depth=1
	s_add_u32 s16, s4, 8
	s_addc_u32 s17, s5, 0
	s_cmp_gt_u32 s20, 7
	s_cbranch_scc1 .LBB7_55
; %bb.51:                               ;   in Loop: Header=BB7_29 Depth=1
	v_mov_b32_e32 v14, 0
	v_mov_b32_e32 v15, 0
	s_cmp_eq_u32 s20, 0
	s_cbranch_scc1 .LBB7_54
; %bb.52:                               ;   in Loop: Header=BB7_29 Depth=1
	s_mov_b64 s[16:17], 0
	s_mov_b64 s[18:19], 0
.LBB7_53:                               ;   Parent Loop BB7_29 Depth=1
                                        ; =>  This Inner Loop Header: Depth=2
	s_add_u32 s22, s4, s18
	s_addc_u32 s23, s5, s19
	s_add_u32 s18, s18, 1
	global_load_ubyte v6, v7, s[22:23]
	s_addc_u32 s19, s19, 0
	s_waitcnt vmcnt(0)
	v_and_b32_e32 v6, 0xffff, v6
	v_lshlrev_b64 v[16:17], s16, v[6:7]
	s_add_u32 s16, s16, 8
	s_addc_u32 s17, s17, 0
	s_cmp_lg_u32 s20, s18
	v_or_b32_e32 v14, v16, v14
	v_or_b32_e32 v15, v17, v15
	s_cbranch_scc1 .LBB7_53
.LBB7_54:                               ;   in Loop: Header=BB7_29 Depth=1
	s_mov_b64 s[16:17], s[4:5]
	s_mov_b32 s21, 0
	s_cbranch_execz .LBB7_56
	s_branch .LBB7_57
.LBB7_55:                               ;   in Loop: Header=BB7_29 Depth=1
                                        ; implicit-def: $vgpr14_vgpr15
	s_mov_b32 s21, 0
.LBB7_56:                               ;   in Loop: Header=BB7_29 Depth=1
	global_load_dwordx2 v[14:15], v7, s[4:5]
	s_add_i32 s21, s20, -8
.LBB7_57:                               ;   in Loop: Header=BB7_29 Depth=1
	s_add_u32 s4, s16, 8
	s_addc_u32 s5, s17, 0
	s_cmp_gt_u32 s21, 7
	s_cbranch_scc1 .LBB7_62
; %bb.58:                               ;   in Loop: Header=BB7_29 Depth=1
	v_mov_b32_e32 v16, 0
	v_mov_b32_e32 v17, 0
	s_cmp_eq_u32 s21, 0
	s_cbranch_scc1 .LBB7_61
; %bb.59:                               ;   in Loop: Header=BB7_29 Depth=1
	s_mov_b64 s[4:5], 0
	s_mov_b64 s[18:19], 0
.LBB7_60:                               ;   Parent Loop BB7_29 Depth=1
                                        ; =>  This Inner Loop Header: Depth=2
	s_add_u32 s22, s16, s18
	s_addc_u32 s23, s17, s19
	s_add_u32 s18, s18, 1
	global_load_ubyte v6, v7, s[22:23]
	s_addc_u32 s19, s19, 0
	s_waitcnt vmcnt(0)
	v_and_b32_e32 v6, 0xffff, v6
	v_lshlrev_b64 v[18:19], s4, v[6:7]
	s_add_u32 s4, s4, 8
	s_addc_u32 s5, s5, 0
	s_cmp_lg_u32 s21, s18
	v_or_b32_e32 v16, v18, v16
	v_or_b32_e32 v17, v19, v17
	s_cbranch_scc1 .LBB7_60
.LBB7_61:                               ;   in Loop: Header=BB7_29 Depth=1
	s_mov_b64 s[4:5], s[16:17]
	s_mov_b32 s20, 0
	s_cbranch_execz .LBB7_63
	s_branch .LBB7_64
.LBB7_62:                               ;   in Loop: Header=BB7_29 Depth=1
	s_mov_b32 s20, 0
.LBB7_63:                               ;   in Loop: Header=BB7_29 Depth=1
	global_load_dwordx2 v[16:17], v7, s[16:17]
	s_add_i32 s20, s21, -8
.LBB7_64:                               ;   in Loop: Header=BB7_29 Depth=1
	s_add_u32 s16, s4, 8
	s_addc_u32 s17, s5, 0
	s_cmp_gt_u32 s20, 7
	s_cbranch_scc1 .LBB7_69
; %bb.65:                               ;   in Loop: Header=BB7_29 Depth=1
	v_mov_b32_e32 v18, 0
	v_mov_b32_e32 v19, 0
	s_cmp_eq_u32 s20, 0
	s_cbranch_scc1 .LBB7_68
; %bb.66:                               ;   in Loop: Header=BB7_29 Depth=1
	s_mov_b64 s[16:17], 0
	s_mov_b64 s[18:19], 0
.LBB7_67:                               ;   Parent Loop BB7_29 Depth=1
                                        ; =>  This Inner Loop Header: Depth=2
	s_add_u32 s22, s4, s18
	s_addc_u32 s23, s5, s19
	s_add_u32 s18, s18, 1
	global_load_ubyte v6, v7, s[22:23]
	s_addc_u32 s19, s19, 0
	s_waitcnt vmcnt(0)
	v_and_b32_e32 v6, 0xffff, v6
	v_lshlrev_b64 v[20:21], s16, v[6:7]
	s_add_u32 s16, s16, 8
	s_addc_u32 s17, s17, 0
	s_cmp_lg_u32 s20, s18
	v_or_b32_e32 v18, v20, v18
	v_or_b32_e32 v19, v21, v19
	s_cbranch_scc1 .LBB7_67
.LBB7_68:                               ;   in Loop: Header=BB7_29 Depth=1
	s_mov_b64 s[16:17], s[4:5]
	s_mov_b32 s21, 0
	s_cbranch_execz .LBB7_70
	s_branch .LBB7_71
.LBB7_69:                               ;   in Loop: Header=BB7_29 Depth=1
                                        ; implicit-def: $vgpr18_vgpr19
	s_mov_b32 s21, 0
.LBB7_70:                               ;   in Loop: Header=BB7_29 Depth=1
	global_load_dwordx2 v[18:19], v7, s[4:5]
	s_add_i32 s21, s20, -8
.LBB7_71:                               ;   in Loop: Header=BB7_29 Depth=1
	s_cmp_gt_u32 s21, 7
	s_cbranch_scc1 .LBB7_76
; %bb.72:                               ;   in Loop: Header=BB7_29 Depth=1
	v_mov_b32_e32 v20, 0
	v_mov_b32_e32 v21, 0
	s_cmp_eq_u32 s21, 0
	s_cbranch_scc1 .LBB7_75
; %bb.73:                               ;   in Loop: Header=BB7_29 Depth=1
	s_mov_b64 s[4:5], 0
	s_mov_b64 s[18:19], s[16:17]
.LBB7_74:                               ;   Parent Loop BB7_29 Depth=1
                                        ; =>  This Inner Loop Header: Depth=2
	global_load_ubyte v6, v7, s[18:19]
	s_add_i32 s21, s21, -1
	s_waitcnt vmcnt(0)
	v_and_b32_e32 v6, 0xffff, v6
	v_lshlrev_b64 v[22:23], s4, v[6:7]
	s_add_u32 s4, s4, 8
	s_addc_u32 s5, s5, 0
	s_add_u32 s18, s18, 1
	s_addc_u32 s19, s19, 0
	s_cmp_lg_u32 s21, 0
	v_or_b32_e32 v20, v22, v20
	v_or_b32_e32 v21, v23, v21
	s_cbranch_scc1 .LBB7_74
.LBB7_75:                               ;   in Loop: Header=BB7_29 Depth=1
	s_cbranch_execz .LBB7_77
	s_branch .LBB7_78
.LBB7_76:                               ;   in Loop: Header=BB7_29 Depth=1
.LBB7_77:                               ;   in Loop: Header=BB7_29 Depth=1
	global_load_dwordx2 v[20:21], v7, s[16:17]
.LBB7_78:                               ;   in Loop: Header=BB7_29 Depth=1
	v_readfirstlane_b32 s4, v29
	v_mov_b32_e32 v26, 0
	v_mov_b32_e32 v27, 0
	v_cmp_eq_u32_e64 s4, s4, v29
	s_and_saveexec_b32 s5, s4
	s_cbranch_execz .LBB7_84
; %bb.79:                               ;   in Loop: Header=BB7_29 Depth=1
	global_load_dwordx2 v[24:25], v7, s[6:7] offset:24 glc dlc
	s_waitcnt vmcnt(0)
	buffer_gl1_inv
	buffer_gl0_inv
	s_clause 0x1
	global_load_dwordx2 v[22:23], v7, s[6:7] offset:40
	global_load_dwordx2 v[26:27], v7, s[6:7]
	s_mov_b32 s16, exec_lo
	s_waitcnt vmcnt(1)
	v_and_b32_e32 v6, v23, v25
	v_and_b32_e32 v22, v22, v24
	v_mul_lo_u32 v6, v6, 24
	v_mul_hi_u32 v23, v22, 24
	v_mul_lo_u32 v22, v22, 24
	v_add_nc_u32_e32 v6, v23, v6
	s_waitcnt vmcnt(0)
	v_add_co_u32 v22, vcc_lo, v26, v22
	v_add_co_ci_u32_e64 v23, null, v27, v6, vcc_lo
	global_load_dwordx2 v[22:23], v[22:23], off glc dlc
	s_waitcnt vmcnt(0)
	global_atomic_cmpswap_x2 v[26:27], v7, v[22:25], s[6:7] offset:24 glc
	s_waitcnt vmcnt(0)
	buffer_gl1_inv
	buffer_gl0_inv
	v_cmpx_ne_u64_e64 v[26:27], v[24:25]
	s_cbranch_execz .LBB7_83
; %bb.80:                               ;   in Loop: Header=BB7_29 Depth=1
	s_mov_b32 s17, 0
	.p2align	6
.LBB7_81:                               ;   Parent Loop BB7_29 Depth=1
                                        ; =>  This Inner Loop Header: Depth=2
	s_sleep 1
	s_clause 0x1
	global_load_dwordx2 v[22:23], v7, s[6:7] offset:40
	global_load_dwordx2 v[31:32], v7, s[6:7]
	v_mov_b32_e32 v24, v26
	v_mov_b32_e32 v25, v27
	s_waitcnt vmcnt(1)
	v_and_b32_e32 v6, v22, v24
	v_and_b32_e32 v22, v23, v25
	s_waitcnt vmcnt(0)
	v_mad_u64_u32 v[26:27], null, v6, 24, v[31:32]
	v_mov_b32_e32 v6, v27
	v_mad_u64_u32 v[22:23], null, v22, 24, v[6:7]
	v_mov_b32_e32 v27, v22
	global_load_dwordx2 v[22:23], v[26:27], off glc dlc
	s_waitcnt vmcnt(0)
	global_atomic_cmpswap_x2 v[26:27], v7, v[22:25], s[6:7] offset:24 glc
	s_waitcnt vmcnt(0)
	buffer_gl1_inv
	buffer_gl0_inv
	v_cmp_eq_u64_e32 vcc_lo, v[26:27], v[24:25]
	s_or_b32 s17, vcc_lo, s17
	s_andn2_b32 exec_lo, exec_lo, s17
	s_cbranch_execnz .LBB7_81
; %bb.82:                               ;   in Loop: Header=BB7_29 Depth=1
	s_or_b32 exec_lo, exec_lo, s17
.LBB7_83:                               ;   in Loop: Header=BB7_29 Depth=1
	s_or_b32 exec_lo, exec_lo, s16
.LBB7_84:                               ;   in Loop: Header=BB7_29 Depth=1
	s_or_b32 exec_lo, exec_lo, s5
	s_clause 0x1
	global_load_dwordx2 v[31:32], v7, s[6:7] offset:40
	global_load_dwordx4 v[22:25], v7, s[6:7]
	v_readfirstlane_b32 s17, v27
	v_readfirstlane_b32 s16, v26
	s_mov_b32 s5, exec_lo
	s_waitcnt vmcnt(1)
	v_readfirstlane_b32 s18, v31
	v_readfirstlane_b32 s19, v32
	s_and_b64 s[18:19], s[18:19], s[16:17]
	s_mul_i32 s20, s19, 24
	s_mul_hi_u32 s21, s18, 24
	s_mul_i32 s22, s18, 24
	s_add_i32 s21, s21, s20
	s_waitcnt vmcnt(0)
	v_add_co_u32 v26, vcc_lo, v22, s22
	v_add_co_ci_u32_e64 v27, null, s21, v23, vcc_lo
	s_and_saveexec_b32 s20, s4
	s_cbranch_execz .LBB7_86
; %bb.85:                               ;   in Loop: Header=BB7_29 Depth=1
	v_mov_b32_e32 v6, s5
	global_store_dwordx4 v[26:27], v[6:9], off offset:8
.LBB7_86:                               ;   in Loop: Header=BB7_29 Depth=1
	s_or_b32 exec_lo, exec_lo, s20
	v_cmp_lt_u64_e64 vcc_lo, s[12:13], 57
	s_lshl_b64 s[18:19], s[18:19], 12
	v_and_b32_e32 v0, 0xffffff1f, v0
	s_lshl_b32 s5, s14, 2
	s_add_i32 s5, s5, 28
	v_cndmask_b32_e32 v6, 0, v30, vcc_lo
	v_add_co_u32 v24, vcc_lo, v24, s18
	v_add_co_ci_u32_e64 v25, null, s19, v25, vcc_lo
	v_or_b32_e32 v0, v0, v6
	v_readfirstlane_b32 s18, v24
	v_readfirstlane_b32 s19, v25
	v_and_or_b32 v0, 0x1e0, s5, v0
	global_store_dwordx4 v28, v[10:13], s[18:19] offset:16
	global_store_dwordx4 v28, v[0:3], s[18:19]
	global_store_dwordx4 v28, v[14:17], s[18:19] offset:32
	global_store_dwordx4 v28, v[18:21], s[18:19] offset:48
	s_and_saveexec_b32 s5, s4
	s_cbranch_execz .LBB7_94
; %bb.87:                               ;   in Loop: Header=BB7_29 Depth=1
	s_clause 0x1
	global_load_dwordx2 v[14:15], v7, s[6:7] offset:32 glc dlc
	global_load_dwordx2 v[0:1], v7, s[6:7] offset:40
	v_mov_b32_e32 v12, s16
	v_mov_b32_e32 v13, s17
	s_waitcnt vmcnt(0)
	v_readfirstlane_b32 s18, v0
	v_readfirstlane_b32 s19, v1
	s_and_b64 s[18:19], s[18:19], s[16:17]
	s_mul_i32 s19, s19, 24
	s_mul_hi_u32 s20, s18, 24
	s_mul_i32 s18, s18, 24
	s_add_i32 s20, s20, s19
	v_add_co_u32 v10, vcc_lo, v22, s18
	v_add_co_ci_u32_e64 v11, null, s20, v23, vcc_lo
	s_mov_b32 s18, exec_lo
	global_store_dwordx2 v[10:11], v[14:15], off
	s_waitcnt_vscnt null, 0x0
	global_atomic_cmpswap_x2 v[2:3], v7, v[12:15], s[6:7] offset:32 glc
	s_waitcnt vmcnt(0)
	v_cmpx_ne_u64_e64 v[2:3], v[14:15]
	s_cbranch_execz .LBB7_90
; %bb.88:                               ;   in Loop: Header=BB7_29 Depth=1
	s_mov_b32 s19, 0
.LBB7_89:                               ;   Parent Loop BB7_29 Depth=1
                                        ; =>  This Inner Loop Header: Depth=2
	v_mov_b32_e32 v0, s16
	v_mov_b32_e32 v1, s17
	s_sleep 1
	global_store_dwordx2 v[10:11], v[2:3], off
	s_waitcnt_vscnt null, 0x0
	global_atomic_cmpswap_x2 v[0:1], v7, v[0:3], s[6:7] offset:32 glc
	s_waitcnt vmcnt(0)
	v_cmp_eq_u64_e32 vcc_lo, v[0:1], v[2:3]
	v_mov_b32_e32 v3, v1
	v_mov_b32_e32 v2, v0
	s_or_b32 s19, vcc_lo, s19
	s_andn2_b32 exec_lo, exec_lo, s19
	s_cbranch_execnz .LBB7_89
.LBB7_90:                               ;   in Loop: Header=BB7_29 Depth=1
	s_or_b32 exec_lo, exec_lo, s18
	global_load_dwordx2 v[0:1], v7, s[6:7] offset:16
	s_mov_b32 s19, exec_lo
	s_mov_b32 s18, exec_lo
	v_mbcnt_lo_u32_b32 v2, s19, 0
	v_cmpx_eq_u32_e32 0, v2
	s_cbranch_execz .LBB7_92
; %bb.91:                               ;   in Loop: Header=BB7_29 Depth=1
	s_bcnt1_i32_b32 s19, s19
	v_mov_b32_e32 v6, s19
	s_waitcnt vmcnt(0)
	global_atomic_add_x2 v[0:1], v[6:7], off offset:8
.LBB7_92:                               ;   in Loop: Header=BB7_29 Depth=1
	s_or_b32 exec_lo, exec_lo, s18
	s_waitcnt vmcnt(0)
	global_load_dwordx2 v[2:3], v[0:1], off offset:16
	s_waitcnt vmcnt(0)
	v_cmp_eq_u64_e32 vcc_lo, 0, v[2:3]
	s_cbranch_vccnz .LBB7_94
; %bb.93:                               ;   in Loop: Header=BB7_29 Depth=1
	global_load_dword v6, v[0:1], off offset:24
	s_waitcnt vmcnt(0)
	v_readfirstlane_b32 s18, v6
	s_waitcnt_vscnt null, 0x0
	global_store_dwordx2 v[2:3], v[6:7], off
	s_and_b32 m0, s18, 0x7fffff
	s_sendmsg sendmsg(MSG_INTERRUPT)
.LBB7_94:                               ;   in Loop: Header=BB7_29 Depth=1
	s_or_b32 exec_lo, exec_lo, s5
	v_add_co_u32 v0, vcc_lo, v24, v28
	v_add_co_ci_u32_e64 v1, null, 0, v25, vcc_lo
	s_branch .LBB7_98
	.p2align	6
.LBB7_95:                               ;   in Loop: Header=BB7_98 Depth=2
	s_or_b32 exec_lo, exec_lo, s5
	v_readfirstlane_b32 s5, v2
	s_cmp_eq_u32 s5, 0
	s_cbranch_scc1 .LBB7_97
; %bb.96:                               ;   in Loop: Header=BB7_98 Depth=2
	s_sleep 1
	s_cbranch_execnz .LBB7_98
	s_branch .LBB7_100
	.p2align	6
.LBB7_97:                               ;   in Loop: Header=BB7_29 Depth=1
	s_branch .LBB7_100
.LBB7_98:                               ;   Parent Loop BB7_29 Depth=1
                                        ; =>  This Inner Loop Header: Depth=2
	v_mov_b32_e32 v2, 1
	s_and_saveexec_b32 s5, s4
	s_cbranch_execz .LBB7_95
; %bb.99:                               ;   in Loop: Header=BB7_98 Depth=2
	global_load_dword v2, v[26:27], off offset:20 glc dlc
	s_waitcnt vmcnt(0)
	buffer_gl1_inv
	buffer_gl0_inv
	v_and_b32_e32 v2, 1, v2
	s_branch .LBB7_95
.LBB7_100:                              ;   in Loop: Header=BB7_29 Depth=1
	global_load_dwordx2 v[0:1], v[0:1], off
	s_and_saveexec_b32 s18, s4
	s_cbranch_execz .LBB7_28
; %bb.101:                              ;   in Loop: Header=BB7_29 Depth=1
	s_clause 0x2
	global_load_dwordx2 v[2:3], v7, s[6:7] offset:40
	global_load_dwordx2 v[14:15], v7, s[6:7] offset:24 glc dlc
	global_load_dwordx2 v[10:11], v7, s[6:7]
	s_waitcnt vmcnt(2)
	v_readfirstlane_b32 s20, v2
	v_readfirstlane_b32 s21, v3
	s_add_u32 s19, s20, 1
	s_addc_u32 s22, s21, 0
	s_add_u32 s4, s19, s16
	s_addc_u32 s5, s22, s17
	s_cmp_eq_u64 s[4:5], 0
	s_cselect_b32 s5, s22, s5
	s_cselect_b32 s4, s19, s4
	v_mov_b32_e32 v13, s5
	s_and_b64 s[16:17], s[4:5], s[20:21]
	v_mov_b32_e32 v12, s4
	s_mul_i32 s17, s17, 24
	s_mul_hi_u32 s19, s16, 24
	s_mul_i32 s16, s16, 24
	s_add_i32 s19, s19, s17
	s_waitcnt vmcnt(0)
	v_add_co_u32 v2, vcc_lo, v10, s16
	v_add_co_ci_u32_e64 v3, null, s19, v11, vcc_lo
	global_store_dwordx2 v[2:3], v[14:15], off
	s_waitcnt_vscnt null, 0x0
	global_atomic_cmpswap_x2 v[12:13], v7, v[12:15], s[6:7] offset:24 glc
	s_waitcnt vmcnt(0)
	v_cmp_ne_u64_e32 vcc_lo, v[12:13], v[14:15]
	s_and_b32 exec_lo, exec_lo, vcc_lo
	s_cbranch_execz .LBB7_28
; %bb.102:                              ;   in Loop: Header=BB7_29 Depth=1
	s_mov_b32 s16, 0
.LBB7_103:                              ;   Parent Loop BB7_29 Depth=1
                                        ; =>  This Inner Loop Header: Depth=2
	v_mov_b32_e32 v10, s4
	v_mov_b32_e32 v11, s5
	s_sleep 1
	global_store_dwordx2 v[2:3], v[12:13], off
	s_waitcnt_vscnt null, 0x0
	global_atomic_cmpswap_x2 v[10:11], v7, v[10:13], s[6:7] offset:24 glc
	s_waitcnt vmcnt(0)
	v_cmp_eq_u64_e32 vcc_lo, v[10:11], v[12:13]
	v_mov_b32_e32 v13, v11
	v_mov_b32_e32 v12, v10
	s_or_b32 s16, vcc_lo, s16
	s_andn2_b32 exec_lo, exec_lo, s16
	s_cbranch_execnz .LBB7_103
	s_branch .LBB7_28
.LBB7_104:
                                        ; implicit-def: $vgpr0_vgpr1
	s_cbranch_execnz .LBB7_106
	s_branch .LBB7_133
.LBB7_105:
	s_branch .LBB7_133
.LBB7_106:
	v_readfirstlane_b32 s4, v29
	v_mov_b32_e32 v7, 0
	v_mov_b32_e32 v8, 0
	v_cmp_eq_u32_e64 s4, s4, v29
	s_and_saveexec_b32 s5, s4
	s_cbranch_execz .LBB7_112
; %bb.107:
	s_waitcnt vmcnt(0)
	v_mov_b32_e32 v0, 0
	s_mov_b32 s10, exec_lo
	global_load_dwordx2 v[9:10], v0, s[6:7] offset:24 glc dlc
	s_waitcnt vmcnt(0)
	buffer_gl1_inv
	buffer_gl0_inv
	s_clause 0x1
	global_load_dwordx2 v[1:2], v0, s[6:7] offset:40
	global_load_dwordx2 v[6:7], v0, s[6:7]
	s_waitcnt vmcnt(1)
	v_and_b32_e32 v2, v2, v10
	v_and_b32_e32 v1, v1, v9
	v_mul_lo_u32 v2, v2, 24
	v_mul_hi_u32 v3, v1, 24
	v_mul_lo_u32 v1, v1, 24
	v_add_nc_u32_e32 v2, v3, v2
	s_waitcnt vmcnt(0)
	v_add_co_u32 v1, vcc_lo, v6, v1
	v_add_co_ci_u32_e64 v2, null, v7, v2, vcc_lo
	global_load_dwordx2 v[7:8], v[1:2], off glc dlc
	s_waitcnt vmcnt(0)
	global_atomic_cmpswap_x2 v[7:8], v0, v[7:10], s[6:7] offset:24 glc
	s_waitcnt vmcnt(0)
	buffer_gl1_inv
	buffer_gl0_inv
	v_cmpx_ne_u64_e64 v[7:8], v[9:10]
	s_cbranch_execz .LBB7_111
; %bb.108:
	s_mov_b32 s11, 0
	.p2align	6
.LBB7_109:                              ; =>This Inner Loop Header: Depth=1
	s_sleep 1
	s_clause 0x1
	global_load_dwordx2 v[1:2], v0, s[6:7] offset:40
	global_load_dwordx2 v[11:12], v0, s[6:7]
	v_mov_b32_e32 v10, v8
	v_mov_b32_e32 v9, v7
	s_waitcnt vmcnt(1)
	v_and_b32_e32 v1, v1, v9
	v_and_b32_e32 v2, v2, v10
	s_waitcnt vmcnt(0)
	v_mad_u64_u32 v[6:7], null, v1, 24, v[11:12]
	v_mov_b32_e32 v1, v7
	v_mad_u64_u32 v[1:2], null, v2, 24, v[1:2]
	v_mov_b32_e32 v7, v1
	global_load_dwordx2 v[7:8], v[6:7], off glc dlc
	s_waitcnt vmcnt(0)
	global_atomic_cmpswap_x2 v[7:8], v0, v[7:10], s[6:7] offset:24 glc
	s_waitcnt vmcnt(0)
	buffer_gl1_inv
	buffer_gl0_inv
	v_cmp_eq_u64_e32 vcc_lo, v[7:8], v[9:10]
	s_or_b32 s11, vcc_lo, s11
	s_andn2_b32 exec_lo, exec_lo, s11
	s_cbranch_execnz .LBB7_109
; %bb.110:
	s_or_b32 exec_lo, exec_lo, s11
.LBB7_111:
	s_or_b32 exec_lo, exec_lo, s10
.LBB7_112:
	s_or_b32 exec_lo, exec_lo, s5
	v_mov_b32_e32 v6, 0
	v_readfirstlane_b32 s11, v8
	v_readfirstlane_b32 s10, v7
	s_mov_b32 s5, exec_lo
	s_clause 0x1
	global_load_dwordx2 v[9:10], v6, s[6:7] offset:40
	global_load_dwordx4 v[0:3], v6, s[6:7]
	s_waitcnt vmcnt(1)
	v_readfirstlane_b32 s12, v9
	v_readfirstlane_b32 s13, v10
	s_and_b64 s[12:13], s[12:13], s[10:11]
	s_mul_i32 s14, s13, 24
	s_mul_hi_u32 s15, s12, 24
	s_mul_i32 s16, s12, 24
	s_add_i32 s15, s15, s14
	s_waitcnt vmcnt(0)
	v_add_co_u32 v8, vcc_lo, v0, s16
	v_add_co_ci_u32_e64 v9, null, s15, v1, vcc_lo
	s_and_saveexec_b32 s14, s4
	s_cbranch_execz .LBB7_114
; %bb.113:
	v_mov_b32_e32 v10, s5
	v_mov_b32_e32 v11, v6
	;; [unrolled: 1-line block ×4, first 2 shown]
	global_store_dwordx4 v[8:9], v[10:13], off offset:8
.LBB7_114:
	s_or_b32 exec_lo, exec_lo, s14
	s_lshl_b64 s[12:13], s[12:13], 12
	v_and_or_b32 v4, 0xffffff1f, v4, 32
	v_add_co_u32 v2, vcc_lo, v2, s12
	v_add_co_ci_u32_e64 v3, null, s13, v3, vcc_lo
	s_mov_b32 s12, 0
	v_add_co_u32 v10, vcc_lo, v2, v28
	s_mov_b32 s13, s12
	s_mov_b32 s14, s12
	;; [unrolled: 1-line block ×3, first 2 shown]
	v_mov_b32_e32 v7, v6
	v_readfirstlane_b32 s16, v2
	v_readfirstlane_b32 s17, v3
	v_mov_b32_e32 v12, s12
	v_add_co_ci_u32_e64 v11, null, 0, v3, vcc_lo
	v_mov_b32_e32 v13, s13
	v_mov_b32_e32 v14, s14
	;; [unrolled: 1-line block ×3, first 2 shown]
	global_store_dwordx4 v28, v[4:7], s[16:17]
	global_store_dwordx4 v28, v[12:15], s[16:17] offset:16
	global_store_dwordx4 v28, v[12:15], s[16:17] offset:32
	;; [unrolled: 1-line block ×3, first 2 shown]
	s_and_saveexec_b32 s5, s4
	s_cbranch_execz .LBB7_122
; %bb.115:
	v_mov_b32_e32 v6, 0
	v_mov_b32_e32 v12, s10
	;; [unrolled: 1-line block ×3, first 2 shown]
	s_clause 0x1
	global_load_dwordx2 v[14:15], v6, s[6:7] offset:32 glc dlc
	global_load_dwordx2 v[2:3], v6, s[6:7] offset:40
	s_waitcnt vmcnt(0)
	v_readfirstlane_b32 s12, v2
	v_readfirstlane_b32 s13, v3
	s_and_b64 s[12:13], s[12:13], s[10:11]
	s_mul_i32 s13, s13, 24
	s_mul_hi_u32 s14, s12, 24
	s_mul_i32 s12, s12, 24
	s_add_i32 s14, s14, s13
	v_add_co_u32 v4, vcc_lo, v0, s12
	v_add_co_ci_u32_e64 v5, null, s14, v1, vcc_lo
	s_mov_b32 s12, exec_lo
	global_store_dwordx2 v[4:5], v[14:15], off
	s_waitcnt_vscnt null, 0x0
	global_atomic_cmpswap_x2 v[2:3], v6, v[12:15], s[6:7] offset:32 glc
	s_waitcnt vmcnt(0)
	v_cmpx_ne_u64_e64 v[2:3], v[14:15]
	s_cbranch_execz .LBB7_118
; %bb.116:
	s_mov_b32 s13, 0
.LBB7_117:                              ; =>This Inner Loop Header: Depth=1
	v_mov_b32_e32 v0, s10
	v_mov_b32_e32 v1, s11
	s_sleep 1
	global_store_dwordx2 v[4:5], v[2:3], off
	s_waitcnt_vscnt null, 0x0
	global_atomic_cmpswap_x2 v[0:1], v6, v[0:3], s[6:7] offset:32 glc
	s_waitcnt vmcnt(0)
	v_cmp_eq_u64_e32 vcc_lo, v[0:1], v[2:3]
	v_mov_b32_e32 v3, v1
	v_mov_b32_e32 v2, v0
	s_or_b32 s13, vcc_lo, s13
	s_andn2_b32 exec_lo, exec_lo, s13
	s_cbranch_execnz .LBB7_117
.LBB7_118:
	s_or_b32 exec_lo, exec_lo, s12
	v_mov_b32_e32 v3, 0
	s_mov_b32 s13, exec_lo
	s_mov_b32 s12, exec_lo
	v_mbcnt_lo_u32_b32 v2, s13, 0
	global_load_dwordx2 v[0:1], v3, s[6:7] offset:16
	v_cmpx_eq_u32_e32 0, v2
	s_cbranch_execz .LBB7_120
; %bb.119:
	s_bcnt1_i32_b32 s13, s13
	v_mov_b32_e32 v2, s13
	s_waitcnt vmcnt(0)
	global_atomic_add_x2 v[0:1], v[2:3], off offset:8
.LBB7_120:
	s_or_b32 exec_lo, exec_lo, s12
	s_waitcnt vmcnt(0)
	global_load_dwordx2 v[2:3], v[0:1], off offset:16
	s_waitcnt vmcnt(0)
	v_cmp_eq_u64_e32 vcc_lo, 0, v[2:3]
	s_cbranch_vccnz .LBB7_122
; %bb.121:
	global_load_dword v0, v[0:1], off offset:24
	v_mov_b32_e32 v1, 0
	s_waitcnt vmcnt(0)
	v_readfirstlane_b32 s12, v0
	s_waitcnt_vscnt null, 0x0
	global_store_dwordx2 v[2:3], v[0:1], off
	s_and_b32 m0, s12, 0x7fffff
	s_sendmsg sendmsg(MSG_INTERRUPT)
.LBB7_122:
	s_or_b32 exec_lo, exec_lo, s5
	s_branch .LBB7_126
	.p2align	6
.LBB7_123:                              ;   in Loop: Header=BB7_126 Depth=1
	s_or_b32 exec_lo, exec_lo, s5
	v_readfirstlane_b32 s5, v0
	s_cmp_eq_u32 s5, 0
	s_cbranch_scc1 .LBB7_125
; %bb.124:                              ;   in Loop: Header=BB7_126 Depth=1
	s_sleep 1
	s_cbranch_execnz .LBB7_126
	s_branch .LBB7_128
	.p2align	6
.LBB7_125:
	s_branch .LBB7_128
.LBB7_126:                              ; =>This Inner Loop Header: Depth=1
	v_mov_b32_e32 v0, 1
	s_and_saveexec_b32 s5, s4
	s_cbranch_execz .LBB7_123
; %bb.127:                              ;   in Loop: Header=BB7_126 Depth=1
	global_load_dword v0, v[8:9], off offset:20 glc dlc
	s_waitcnt vmcnt(0)
	buffer_gl1_inv
	buffer_gl0_inv
	v_and_b32_e32 v0, 1, v0
	s_branch .LBB7_123
.LBB7_128:
	global_load_dwordx2 v[0:1], v[10:11], off
	s_and_saveexec_b32 s12, s4
	s_cbranch_execz .LBB7_132
; %bb.129:
	v_mov_b32_e32 v8, 0
	s_clause 0x2
	global_load_dwordx2 v[2:3], v8, s[6:7] offset:40
	global_load_dwordx2 v[11:12], v8, s[6:7] offset:24 glc dlc
	global_load_dwordx2 v[4:5], v8, s[6:7]
	s_waitcnt vmcnt(2)
	v_readfirstlane_b32 s14, v2
	v_readfirstlane_b32 s15, v3
	s_add_u32 s13, s14, 1
	s_addc_u32 s16, s15, 0
	s_add_u32 s4, s13, s10
	s_addc_u32 s5, s16, s11
	s_cmp_eq_u64 s[4:5], 0
	s_cselect_b32 s5, s16, s5
	s_cselect_b32 s4, s13, s4
	v_mov_b32_e32 v10, s5
	s_and_b64 s[10:11], s[4:5], s[14:15]
	v_mov_b32_e32 v9, s4
	s_mul_i32 s11, s11, 24
	s_mul_hi_u32 s13, s10, 24
	s_mul_i32 s10, s10, 24
	s_add_i32 s13, s13, s11
	s_waitcnt vmcnt(0)
	v_add_co_u32 v6, vcc_lo, v4, s10
	v_add_co_ci_u32_e64 v7, null, s13, v5, vcc_lo
	global_store_dwordx2 v[6:7], v[11:12], off
	s_waitcnt_vscnt null, 0x0
	global_atomic_cmpswap_x2 v[4:5], v8, v[9:12], s[6:7] offset:24 glc
	s_waitcnt vmcnt(0)
	v_cmp_ne_u64_e32 vcc_lo, v[4:5], v[11:12]
	s_and_b32 exec_lo, exec_lo, vcc_lo
	s_cbranch_execz .LBB7_132
; %bb.130:
	s_mov_b32 s10, 0
.LBB7_131:                              ; =>This Inner Loop Header: Depth=1
	v_mov_b32_e32 v2, s4
	v_mov_b32_e32 v3, s5
	s_sleep 1
	global_store_dwordx2 v[6:7], v[4:5], off
	s_waitcnt_vscnt null, 0x0
	global_atomic_cmpswap_x2 v[2:3], v8, v[2:5], s[6:7] offset:24 glc
	s_waitcnt vmcnt(0)
	v_cmp_eq_u64_e32 vcc_lo, v[2:3], v[4:5]
	v_mov_b32_e32 v5, v3
	v_mov_b32_e32 v4, v2
	s_or_b32 s10, vcc_lo, s10
	s_andn2_b32 exec_lo, exec_lo, s10
	s_cbranch_execnz .LBB7_131
.LBB7_132:
	s_or_b32 exec_lo, exec_lo, s12
.LBB7_133:
	s_getpc_b64 s[4:5]
	s_add_u32 s4, s4, .str.3@rel32@lo+4
	s_addc_u32 s5, s5, .str.3@rel32@hi+12
	s_mov_b64 s[10:11], 0
	s_cmp_lg_u64 s[4:5], 0
	s_cselect_b32 s12, -1, 0
	s_cmp_eq_u64 s[4:5], 0
	s_cbranch_scc1 .LBB7_137
; %bb.134:
	v_mov_b32_e32 v2, 0
	s_getpc_b64 s[4:5]
	s_add_u32 s4, s4, .str.3@rel32@lo+3
	s_addc_u32 s5, s5, .str.3@rel32@hi+11
.LBB7_135:                              ; =>This Inner Loop Header: Depth=1
	global_load_ubyte v3, v2, s[4:5] offset:1
	s_add_u32 s10, s4, 1
	s_addc_u32 s11, s5, 0
	s_mov_b64 s[4:5], s[10:11]
	s_waitcnt vmcnt(0)
	v_cmp_ne_u32_e32 vcc_lo, 0, v3
	s_cbranch_vccnz .LBB7_135
; %bb.136:
	s_getpc_b64 s[4:5]
	s_add_u32 s4, s4, .str.3@rel32@lo+4
	s_addc_u32 s5, s5, .str.3@rel32@hi+12
	s_sub_u32 s4, s10, s4
	s_subb_u32 s5, s11, s5
	s_add_u32 s10, s4, 1
	s_addc_u32 s11, s5, 0
.LBB7_137:
	s_and_b32 vcc_lo, exec_lo, s12
	s_cbranch_vccz .LBB7_215
; %bb.138:
	s_waitcnt vmcnt(0)
	v_and_b32_e32 v30, 2, v0
	v_mov_b32_e32 v7, 0
	v_and_b32_e32 v2, -3, v0
	v_mov_b32_e32 v3, v1
	v_mov_b32_e32 v8, 2
	;; [unrolled: 1-line block ×3, first 2 shown]
	s_getpc_b64 s[12:13]
	s_add_u32 s12, s12, .str.3@rel32@lo+4
	s_addc_u32 s13, s13, .str.3@rel32@hi+12
	s_branch .LBB7_140
.LBB7_139:                              ;   in Loop: Header=BB7_140 Depth=1
	s_or_b32 exec_lo, exec_lo, s18
	s_sub_u32 s10, s10, s14
	s_subb_u32 s11, s11, s15
	s_add_u32 s12, s12, s14
	s_addc_u32 s13, s13, s15
	s_cmp_lg_u64 s[10:11], 0
	s_cbranch_scc0 .LBB7_216
.LBB7_140:                              ; =>This Loop Header: Depth=1
                                        ;     Child Loop BB7_143 Depth 2
                                        ;     Child Loop BB7_150 Depth 2
	;; [unrolled: 1-line block ×11, first 2 shown]
	v_cmp_lt_u64_e64 s4, s[10:11], 56
	v_cmp_gt_u64_e64 s16, s[10:11], 7
	s_and_b32 s4, s4, exec_lo
	s_cselect_b32 s15, s11, 0
	s_cselect_b32 s14, s10, 56
	s_add_u32 s4, s12, 8
	s_addc_u32 s5, s13, 0
	s_and_b32 vcc_lo, exec_lo, s16
	s_cbranch_vccnz .LBB7_145
; %bb.141:                              ;   in Loop: Header=BB7_140 Depth=1
	v_mov_b32_e32 v4, 0
	v_mov_b32_e32 v5, 0
	s_cmp_eq_u64 s[10:11], 0
	s_cbranch_scc1 .LBB7_144
; %bb.142:                              ;   in Loop: Header=BB7_140 Depth=1
	s_lshl_b64 s[4:5], s[14:15], 3
	s_mov_b64 s[16:17], 0
	s_mov_b64 s[18:19], s[12:13]
.LBB7_143:                              ;   Parent Loop BB7_140 Depth=1
                                        ; =>  This Inner Loop Header: Depth=2
	global_load_ubyte v6, v7, s[18:19]
	s_waitcnt vmcnt(0)
	v_and_b32_e32 v6, 0xffff, v6
	v_lshlrev_b64 v[10:11], s16, v[6:7]
	s_add_u32 s16, s16, 8
	s_addc_u32 s17, s17, 0
	s_add_u32 s18, s18, 1
	s_addc_u32 s19, s19, 0
	s_cmp_lg_u32 s4, s16
	v_or_b32_e32 v4, v10, v4
	v_or_b32_e32 v5, v11, v5
	s_cbranch_scc1 .LBB7_143
.LBB7_144:                              ;   in Loop: Header=BB7_140 Depth=1
	s_mov_b64 s[4:5], s[12:13]
	s_mov_b32 s20, 0
	s_cbranch_execz .LBB7_146
	s_branch .LBB7_147
.LBB7_145:                              ;   in Loop: Header=BB7_140 Depth=1
	s_mov_b32 s20, 0
.LBB7_146:                              ;   in Loop: Header=BB7_140 Depth=1
	global_load_dwordx2 v[4:5], v7, s[12:13]
	s_add_i32 s20, s14, -8
.LBB7_147:                              ;   in Loop: Header=BB7_140 Depth=1
	s_add_u32 s16, s4, 8
	s_addc_u32 s17, s5, 0
	s_cmp_gt_u32 s20, 7
	s_cbranch_scc1 .LBB7_152
; %bb.148:                              ;   in Loop: Header=BB7_140 Depth=1
	v_mov_b32_e32 v10, 0
	v_mov_b32_e32 v11, 0
	s_cmp_eq_u32 s20, 0
	s_cbranch_scc1 .LBB7_151
; %bb.149:                              ;   in Loop: Header=BB7_140 Depth=1
	s_mov_b64 s[16:17], 0
	s_mov_b64 s[18:19], 0
.LBB7_150:                              ;   Parent Loop BB7_140 Depth=1
                                        ; =>  This Inner Loop Header: Depth=2
	s_add_u32 s22, s4, s18
	s_addc_u32 s23, s5, s19
	s_add_u32 s18, s18, 1
	global_load_ubyte v6, v7, s[22:23]
	s_addc_u32 s19, s19, 0
	s_waitcnt vmcnt(0)
	v_and_b32_e32 v6, 0xffff, v6
	v_lshlrev_b64 v[12:13], s16, v[6:7]
	s_add_u32 s16, s16, 8
	s_addc_u32 s17, s17, 0
	s_cmp_lg_u32 s20, s18
	v_or_b32_e32 v10, v12, v10
	v_or_b32_e32 v11, v13, v11
	s_cbranch_scc1 .LBB7_150
.LBB7_151:                              ;   in Loop: Header=BB7_140 Depth=1
	s_mov_b64 s[16:17], s[4:5]
	s_mov_b32 s21, 0
	s_cbranch_execz .LBB7_153
	s_branch .LBB7_154
.LBB7_152:                              ;   in Loop: Header=BB7_140 Depth=1
                                        ; implicit-def: $vgpr10_vgpr11
	s_mov_b32 s21, 0
.LBB7_153:                              ;   in Loop: Header=BB7_140 Depth=1
	global_load_dwordx2 v[10:11], v7, s[4:5]
	s_add_i32 s21, s20, -8
.LBB7_154:                              ;   in Loop: Header=BB7_140 Depth=1
	s_add_u32 s4, s16, 8
	s_addc_u32 s5, s17, 0
	s_cmp_gt_u32 s21, 7
	s_cbranch_scc1 .LBB7_159
; %bb.155:                              ;   in Loop: Header=BB7_140 Depth=1
	v_mov_b32_e32 v12, 0
	v_mov_b32_e32 v13, 0
	s_cmp_eq_u32 s21, 0
	s_cbranch_scc1 .LBB7_158
; %bb.156:                              ;   in Loop: Header=BB7_140 Depth=1
	s_mov_b64 s[4:5], 0
	s_mov_b64 s[18:19], 0
.LBB7_157:                              ;   Parent Loop BB7_140 Depth=1
                                        ; =>  This Inner Loop Header: Depth=2
	s_add_u32 s22, s16, s18
	s_addc_u32 s23, s17, s19
	s_add_u32 s18, s18, 1
	global_load_ubyte v6, v7, s[22:23]
	s_addc_u32 s19, s19, 0
	s_waitcnt vmcnt(0)
	v_and_b32_e32 v6, 0xffff, v6
	v_lshlrev_b64 v[14:15], s4, v[6:7]
	s_add_u32 s4, s4, 8
	s_addc_u32 s5, s5, 0
	s_cmp_lg_u32 s21, s18
	v_or_b32_e32 v12, v14, v12
	v_or_b32_e32 v13, v15, v13
	s_cbranch_scc1 .LBB7_157
.LBB7_158:                              ;   in Loop: Header=BB7_140 Depth=1
	s_mov_b64 s[4:5], s[16:17]
	s_mov_b32 s20, 0
	s_cbranch_execz .LBB7_160
	s_branch .LBB7_161
.LBB7_159:                              ;   in Loop: Header=BB7_140 Depth=1
	s_mov_b32 s20, 0
.LBB7_160:                              ;   in Loop: Header=BB7_140 Depth=1
	global_load_dwordx2 v[12:13], v7, s[16:17]
	s_add_i32 s20, s21, -8
.LBB7_161:                              ;   in Loop: Header=BB7_140 Depth=1
	s_add_u32 s16, s4, 8
	s_addc_u32 s17, s5, 0
	s_cmp_gt_u32 s20, 7
	s_cbranch_scc1 .LBB7_166
; %bb.162:                              ;   in Loop: Header=BB7_140 Depth=1
	v_mov_b32_e32 v14, 0
	v_mov_b32_e32 v15, 0
	s_cmp_eq_u32 s20, 0
	s_cbranch_scc1 .LBB7_165
; %bb.163:                              ;   in Loop: Header=BB7_140 Depth=1
	s_mov_b64 s[16:17], 0
	s_mov_b64 s[18:19], 0
.LBB7_164:                              ;   Parent Loop BB7_140 Depth=1
                                        ; =>  This Inner Loop Header: Depth=2
	s_add_u32 s22, s4, s18
	s_addc_u32 s23, s5, s19
	s_add_u32 s18, s18, 1
	global_load_ubyte v6, v7, s[22:23]
	s_addc_u32 s19, s19, 0
	s_waitcnt vmcnt(0)
	v_and_b32_e32 v6, 0xffff, v6
	v_lshlrev_b64 v[16:17], s16, v[6:7]
	s_add_u32 s16, s16, 8
	s_addc_u32 s17, s17, 0
	s_cmp_lg_u32 s20, s18
	v_or_b32_e32 v14, v16, v14
	v_or_b32_e32 v15, v17, v15
	s_cbranch_scc1 .LBB7_164
.LBB7_165:                              ;   in Loop: Header=BB7_140 Depth=1
	s_mov_b64 s[16:17], s[4:5]
	s_mov_b32 s21, 0
	s_cbranch_execz .LBB7_167
	s_branch .LBB7_168
.LBB7_166:                              ;   in Loop: Header=BB7_140 Depth=1
                                        ; implicit-def: $vgpr14_vgpr15
	s_mov_b32 s21, 0
.LBB7_167:                              ;   in Loop: Header=BB7_140 Depth=1
	global_load_dwordx2 v[14:15], v7, s[4:5]
	s_add_i32 s21, s20, -8
.LBB7_168:                              ;   in Loop: Header=BB7_140 Depth=1
	s_add_u32 s4, s16, 8
	s_addc_u32 s5, s17, 0
	s_cmp_gt_u32 s21, 7
	s_cbranch_scc1 .LBB7_173
; %bb.169:                              ;   in Loop: Header=BB7_140 Depth=1
	v_mov_b32_e32 v16, 0
	v_mov_b32_e32 v17, 0
	s_cmp_eq_u32 s21, 0
	s_cbranch_scc1 .LBB7_172
; %bb.170:                              ;   in Loop: Header=BB7_140 Depth=1
	s_mov_b64 s[4:5], 0
	s_mov_b64 s[18:19], 0
.LBB7_171:                              ;   Parent Loop BB7_140 Depth=1
                                        ; =>  This Inner Loop Header: Depth=2
	s_add_u32 s22, s16, s18
	s_addc_u32 s23, s17, s19
	s_add_u32 s18, s18, 1
	global_load_ubyte v6, v7, s[22:23]
	s_addc_u32 s19, s19, 0
	s_waitcnt vmcnt(0)
	v_and_b32_e32 v6, 0xffff, v6
	v_lshlrev_b64 v[18:19], s4, v[6:7]
	s_add_u32 s4, s4, 8
	s_addc_u32 s5, s5, 0
	s_cmp_lg_u32 s21, s18
	v_or_b32_e32 v16, v18, v16
	v_or_b32_e32 v17, v19, v17
	s_cbranch_scc1 .LBB7_171
.LBB7_172:                              ;   in Loop: Header=BB7_140 Depth=1
	s_mov_b64 s[4:5], s[16:17]
	s_mov_b32 s20, 0
	s_cbranch_execz .LBB7_174
	s_branch .LBB7_175
.LBB7_173:                              ;   in Loop: Header=BB7_140 Depth=1
	s_mov_b32 s20, 0
.LBB7_174:                              ;   in Loop: Header=BB7_140 Depth=1
	global_load_dwordx2 v[16:17], v7, s[16:17]
	s_add_i32 s20, s21, -8
.LBB7_175:                              ;   in Loop: Header=BB7_140 Depth=1
	s_add_u32 s16, s4, 8
	s_addc_u32 s17, s5, 0
	s_cmp_gt_u32 s20, 7
	s_cbranch_scc1 .LBB7_180
; %bb.176:                              ;   in Loop: Header=BB7_140 Depth=1
	v_mov_b32_e32 v18, 0
	v_mov_b32_e32 v19, 0
	s_cmp_eq_u32 s20, 0
	s_cbranch_scc1 .LBB7_179
; %bb.177:                              ;   in Loop: Header=BB7_140 Depth=1
	s_mov_b64 s[16:17], 0
	s_mov_b64 s[18:19], 0
.LBB7_178:                              ;   Parent Loop BB7_140 Depth=1
                                        ; =>  This Inner Loop Header: Depth=2
	s_add_u32 s22, s4, s18
	s_addc_u32 s23, s5, s19
	s_add_u32 s18, s18, 1
	global_load_ubyte v6, v7, s[22:23]
	s_addc_u32 s19, s19, 0
	s_waitcnt vmcnt(0)
	v_and_b32_e32 v6, 0xffff, v6
	v_lshlrev_b64 v[20:21], s16, v[6:7]
	s_add_u32 s16, s16, 8
	s_addc_u32 s17, s17, 0
	s_cmp_lg_u32 s20, s18
	v_or_b32_e32 v18, v20, v18
	v_or_b32_e32 v19, v21, v19
	s_cbranch_scc1 .LBB7_178
.LBB7_179:                              ;   in Loop: Header=BB7_140 Depth=1
	s_mov_b64 s[16:17], s[4:5]
	s_mov_b32 s21, 0
	s_cbranch_execz .LBB7_181
	s_branch .LBB7_182
.LBB7_180:                              ;   in Loop: Header=BB7_140 Depth=1
                                        ; implicit-def: $vgpr18_vgpr19
	s_mov_b32 s21, 0
.LBB7_181:                              ;   in Loop: Header=BB7_140 Depth=1
	global_load_dwordx2 v[18:19], v7, s[4:5]
	s_add_i32 s21, s20, -8
.LBB7_182:                              ;   in Loop: Header=BB7_140 Depth=1
	s_cmp_gt_u32 s21, 7
	s_cbranch_scc1 .LBB7_187
; %bb.183:                              ;   in Loop: Header=BB7_140 Depth=1
	v_mov_b32_e32 v20, 0
	v_mov_b32_e32 v21, 0
	s_cmp_eq_u32 s21, 0
	s_cbranch_scc1 .LBB7_186
; %bb.184:                              ;   in Loop: Header=BB7_140 Depth=1
	s_mov_b64 s[4:5], 0
	s_mov_b64 s[18:19], s[16:17]
.LBB7_185:                              ;   Parent Loop BB7_140 Depth=1
                                        ; =>  This Inner Loop Header: Depth=2
	global_load_ubyte v6, v7, s[18:19]
	s_add_i32 s21, s21, -1
	s_waitcnt vmcnt(0)
	v_and_b32_e32 v6, 0xffff, v6
	v_lshlrev_b64 v[22:23], s4, v[6:7]
	s_add_u32 s4, s4, 8
	s_addc_u32 s5, s5, 0
	s_add_u32 s18, s18, 1
	s_addc_u32 s19, s19, 0
	s_cmp_lg_u32 s21, 0
	v_or_b32_e32 v20, v22, v20
	v_or_b32_e32 v21, v23, v21
	s_cbranch_scc1 .LBB7_185
.LBB7_186:                              ;   in Loop: Header=BB7_140 Depth=1
	s_cbranch_execz .LBB7_188
	s_branch .LBB7_189
.LBB7_187:                              ;   in Loop: Header=BB7_140 Depth=1
.LBB7_188:                              ;   in Loop: Header=BB7_140 Depth=1
	global_load_dwordx2 v[20:21], v7, s[16:17]
.LBB7_189:                              ;   in Loop: Header=BB7_140 Depth=1
	v_readfirstlane_b32 s4, v29
	v_mov_b32_e32 v26, 0
	v_mov_b32_e32 v27, 0
	v_cmp_eq_u32_e64 s4, s4, v29
	s_and_saveexec_b32 s5, s4
	s_cbranch_execz .LBB7_195
; %bb.190:                              ;   in Loop: Header=BB7_140 Depth=1
	global_load_dwordx2 v[24:25], v7, s[6:7] offset:24 glc dlc
	s_waitcnt vmcnt(0)
	buffer_gl1_inv
	buffer_gl0_inv
	s_clause 0x1
	global_load_dwordx2 v[22:23], v7, s[6:7] offset:40
	global_load_dwordx2 v[26:27], v7, s[6:7]
	s_mov_b32 s16, exec_lo
	s_waitcnt vmcnt(1)
	v_and_b32_e32 v6, v23, v25
	v_and_b32_e32 v22, v22, v24
	v_mul_lo_u32 v6, v6, 24
	v_mul_hi_u32 v23, v22, 24
	v_mul_lo_u32 v22, v22, 24
	v_add_nc_u32_e32 v6, v23, v6
	s_waitcnt vmcnt(0)
	v_add_co_u32 v22, vcc_lo, v26, v22
	v_add_co_ci_u32_e64 v23, null, v27, v6, vcc_lo
	global_load_dwordx2 v[22:23], v[22:23], off glc dlc
	s_waitcnt vmcnt(0)
	global_atomic_cmpswap_x2 v[26:27], v7, v[22:25], s[6:7] offset:24 glc
	s_waitcnt vmcnt(0)
	buffer_gl1_inv
	buffer_gl0_inv
	v_cmpx_ne_u64_e64 v[26:27], v[24:25]
	s_cbranch_execz .LBB7_194
; %bb.191:                              ;   in Loop: Header=BB7_140 Depth=1
	s_mov_b32 s17, 0
	.p2align	6
.LBB7_192:                              ;   Parent Loop BB7_140 Depth=1
                                        ; =>  This Inner Loop Header: Depth=2
	s_sleep 1
	s_clause 0x1
	global_load_dwordx2 v[22:23], v7, s[6:7] offset:40
	global_load_dwordx2 v[31:32], v7, s[6:7]
	v_mov_b32_e32 v24, v26
	v_mov_b32_e32 v25, v27
	s_waitcnt vmcnt(1)
	v_and_b32_e32 v6, v22, v24
	v_and_b32_e32 v22, v23, v25
	s_waitcnt vmcnt(0)
	v_mad_u64_u32 v[26:27], null, v6, 24, v[31:32]
	v_mov_b32_e32 v6, v27
	v_mad_u64_u32 v[22:23], null, v22, 24, v[6:7]
	v_mov_b32_e32 v27, v22
	global_load_dwordx2 v[22:23], v[26:27], off glc dlc
	s_waitcnt vmcnt(0)
	global_atomic_cmpswap_x2 v[26:27], v7, v[22:25], s[6:7] offset:24 glc
	s_waitcnt vmcnt(0)
	buffer_gl1_inv
	buffer_gl0_inv
	v_cmp_eq_u64_e32 vcc_lo, v[26:27], v[24:25]
	s_or_b32 s17, vcc_lo, s17
	s_andn2_b32 exec_lo, exec_lo, s17
	s_cbranch_execnz .LBB7_192
; %bb.193:                              ;   in Loop: Header=BB7_140 Depth=1
	s_or_b32 exec_lo, exec_lo, s17
.LBB7_194:                              ;   in Loop: Header=BB7_140 Depth=1
	s_or_b32 exec_lo, exec_lo, s16
.LBB7_195:                              ;   in Loop: Header=BB7_140 Depth=1
	s_or_b32 exec_lo, exec_lo, s5
	s_clause 0x1
	global_load_dwordx2 v[31:32], v7, s[6:7] offset:40
	global_load_dwordx4 v[22:25], v7, s[6:7]
	v_readfirstlane_b32 s17, v27
	v_readfirstlane_b32 s16, v26
	s_mov_b32 s5, exec_lo
	s_waitcnt vmcnt(1)
	v_readfirstlane_b32 s18, v31
	v_readfirstlane_b32 s19, v32
	s_and_b64 s[18:19], s[18:19], s[16:17]
	s_mul_i32 s20, s19, 24
	s_mul_hi_u32 s21, s18, 24
	s_mul_i32 s22, s18, 24
	s_add_i32 s21, s21, s20
	s_waitcnt vmcnt(0)
	v_add_co_u32 v26, vcc_lo, v22, s22
	v_add_co_ci_u32_e64 v27, null, s21, v23, vcc_lo
	s_and_saveexec_b32 s20, s4
	s_cbranch_execz .LBB7_197
; %bb.196:                              ;   in Loop: Header=BB7_140 Depth=1
	v_mov_b32_e32 v6, s5
	global_store_dwordx4 v[26:27], v[6:9], off offset:8
.LBB7_197:                              ;   in Loop: Header=BB7_140 Depth=1
	s_or_b32 exec_lo, exec_lo, s20
	v_cmp_lt_u64_e64 vcc_lo, s[10:11], 57
	s_lshl_b64 s[18:19], s[18:19], 12
	v_and_b32_e32 v2, 0xffffff1f, v2
	s_lshl_b32 s5, s14, 2
	s_add_i32 s5, s5, 28
	v_cndmask_b32_e32 v6, 0, v30, vcc_lo
	v_add_co_u32 v24, vcc_lo, v24, s18
	v_add_co_ci_u32_e64 v25, null, s19, v25, vcc_lo
	v_or_b32_e32 v2, v2, v6
	v_readfirstlane_b32 s18, v24
	v_readfirstlane_b32 s19, v25
	v_and_or_b32 v2, 0x1e0, s5, v2
	global_store_dwordx4 v28, v[10:13], s[18:19] offset:16
	global_store_dwordx4 v28, v[2:5], s[18:19]
	global_store_dwordx4 v28, v[14:17], s[18:19] offset:32
	global_store_dwordx4 v28, v[18:21], s[18:19] offset:48
	s_and_saveexec_b32 s5, s4
	s_cbranch_execz .LBB7_205
; %bb.198:                              ;   in Loop: Header=BB7_140 Depth=1
	s_clause 0x1
	global_load_dwordx2 v[14:15], v7, s[6:7] offset:32 glc dlc
	global_load_dwordx2 v[2:3], v7, s[6:7] offset:40
	v_mov_b32_e32 v12, s16
	v_mov_b32_e32 v13, s17
	s_waitcnt vmcnt(0)
	v_readfirstlane_b32 s18, v2
	v_readfirstlane_b32 s19, v3
	s_and_b64 s[18:19], s[18:19], s[16:17]
	s_mul_i32 s19, s19, 24
	s_mul_hi_u32 s20, s18, 24
	s_mul_i32 s18, s18, 24
	s_add_i32 s20, s20, s19
	v_add_co_u32 v10, vcc_lo, v22, s18
	v_add_co_ci_u32_e64 v11, null, s20, v23, vcc_lo
	s_mov_b32 s18, exec_lo
	global_store_dwordx2 v[10:11], v[14:15], off
	s_waitcnt_vscnt null, 0x0
	global_atomic_cmpswap_x2 v[4:5], v7, v[12:15], s[6:7] offset:32 glc
	s_waitcnt vmcnt(0)
	v_cmpx_ne_u64_e64 v[4:5], v[14:15]
	s_cbranch_execz .LBB7_201
; %bb.199:                              ;   in Loop: Header=BB7_140 Depth=1
	s_mov_b32 s19, 0
.LBB7_200:                              ;   Parent Loop BB7_140 Depth=1
                                        ; =>  This Inner Loop Header: Depth=2
	v_mov_b32_e32 v2, s16
	v_mov_b32_e32 v3, s17
	s_sleep 1
	global_store_dwordx2 v[10:11], v[4:5], off
	s_waitcnt_vscnt null, 0x0
	global_atomic_cmpswap_x2 v[2:3], v7, v[2:5], s[6:7] offset:32 glc
	s_waitcnt vmcnt(0)
	v_cmp_eq_u64_e32 vcc_lo, v[2:3], v[4:5]
	v_mov_b32_e32 v5, v3
	v_mov_b32_e32 v4, v2
	s_or_b32 s19, vcc_lo, s19
	s_andn2_b32 exec_lo, exec_lo, s19
	s_cbranch_execnz .LBB7_200
.LBB7_201:                              ;   in Loop: Header=BB7_140 Depth=1
	s_or_b32 exec_lo, exec_lo, s18
	global_load_dwordx2 v[2:3], v7, s[6:7] offset:16
	s_mov_b32 s19, exec_lo
	s_mov_b32 s18, exec_lo
	v_mbcnt_lo_u32_b32 v4, s19, 0
	v_cmpx_eq_u32_e32 0, v4
	s_cbranch_execz .LBB7_203
; %bb.202:                              ;   in Loop: Header=BB7_140 Depth=1
	s_bcnt1_i32_b32 s19, s19
	v_mov_b32_e32 v6, s19
	s_waitcnt vmcnt(0)
	global_atomic_add_x2 v[2:3], v[6:7], off offset:8
.LBB7_203:                              ;   in Loop: Header=BB7_140 Depth=1
	s_or_b32 exec_lo, exec_lo, s18
	s_waitcnt vmcnt(0)
	global_load_dwordx2 v[4:5], v[2:3], off offset:16
	s_waitcnt vmcnt(0)
	v_cmp_eq_u64_e32 vcc_lo, 0, v[4:5]
	s_cbranch_vccnz .LBB7_205
; %bb.204:                              ;   in Loop: Header=BB7_140 Depth=1
	global_load_dword v6, v[2:3], off offset:24
	s_waitcnt vmcnt(0)
	v_readfirstlane_b32 s18, v6
	s_waitcnt_vscnt null, 0x0
	global_store_dwordx2 v[4:5], v[6:7], off
	s_and_b32 m0, s18, 0x7fffff
	s_sendmsg sendmsg(MSG_INTERRUPT)
.LBB7_205:                              ;   in Loop: Header=BB7_140 Depth=1
	s_or_b32 exec_lo, exec_lo, s5
	v_add_co_u32 v2, vcc_lo, v24, v28
	v_add_co_ci_u32_e64 v3, null, 0, v25, vcc_lo
	s_branch .LBB7_209
	.p2align	6
.LBB7_206:                              ;   in Loop: Header=BB7_209 Depth=2
	s_or_b32 exec_lo, exec_lo, s5
	v_readfirstlane_b32 s5, v4
	s_cmp_eq_u32 s5, 0
	s_cbranch_scc1 .LBB7_208
; %bb.207:                              ;   in Loop: Header=BB7_209 Depth=2
	s_sleep 1
	s_cbranch_execnz .LBB7_209
	s_branch .LBB7_211
	.p2align	6
.LBB7_208:                              ;   in Loop: Header=BB7_140 Depth=1
	s_branch .LBB7_211
.LBB7_209:                              ;   Parent Loop BB7_140 Depth=1
                                        ; =>  This Inner Loop Header: Depth=2
	v_mov_b32_e32 v4, 1
	s_and_saveexec_b32 s5, s4
	s_cbranch_execz .LBB7_206
; %bb.210:                              ;   in Loop: Header=BB7_209 Depth=2
	global_load_dword v4, v[26:27], off offset:20 glc dlc
	s_waitcnt vmcnt(0)
	buffer_gl1_inv
	buffer_gl0_inv
	v_and_b32_e32 v4, 1, v4
	s_branch .LBB7_206
.LBB7_211:                              ;   in Loop: Header=BB7_140 Depth=1
	global_load_dwordx2 v[2:3], v[2:3], off
	s_and_saveexec_b32 s18, s4
	s_cbranch_execz .LBB7_139
; %bb.212:                              ;   in Loop: Header=BB7_140 Depth=1
	s_clause 0x2
	global_load_dwordx2 v[4:5], v7, s[6:7] offset:40
	global_load_dwordx2 v[14:15], v7, s[6:7] offset:24 glc dlc
	global_load_dwordx2 v[10:11], v7, s[6:7]
	s_waitcnt vmcnt(2)
	v_readfirstlane_b32 s20, v4
	v_readfirstlane_b32 s21, v5
	s_add_u32 s19, s20, 1
	s_addc_u32 s22, s21, 0
	s_add_u32 s4, s19, s16
	s_addc_u32 s5, s22, s17
	s_cmp_eq_u64 s[4:5], 0
	s_cselect_b32 s5, s22, s5
	s_cselect_b32 s4, s19, s4
	v_mov_b32_e32 v13, s5
	s_and_b64 s[16:17], s[4:5], s[20:21]
	v_mov_b32_e32 v12, s4
	s_mul_i32 s17, s17, 24
	s_mul_hi_u32 s19, s16, 24
	s_mul_i32 s16, s16, 24
	s_add_i32 s19, s19, s17
	s_waitcnt vmcnt(0)
	v_add_co_u32 v4, vcc_lo, v10, s16
	v_add_co_ci_u32_e64 v5, null, s19, v11, vcc_lo
	global_store_dwordx2 v[4:5], v[14:15], off
	s_waitcnt_vscnt null, 0x0
	global_atomic_cmpswap_x2 v[12:13], v7, v[12:15], s[6:7] offset:24 glc
	s_waitcnt vmcnt(0)
	v_cmp_ne_u64_e32 vcc_lo, v[12:13], v[14:15]
	s_and_b32 exec_lo, exec_lo, vcc_lo
	s_cbranch_execz .LBB7_139
; %bb.213:                              ;   in Loop: Header=BB7_140 Depth=1
	s_mov_b32 s16, 0
.LBB7_214:                              ;   Parent Loop BB7_140 Depth=1
                                        ; =>  This Inner Loop Header: Depth=2
	v_mov_b32_e32 v10, s4
	v_mov_b32_e32 v11, s5
	s_sleep 1
	global_store_dwordx2 v[4:5], v[12:13], off
	s_waitcnt_vscnt null, 0x0
	global_atomic_cmpswap_x2 v[10:11], v7, v[10:13], s[6:7] offset:24 glc
	s_waitcnt vmcnt(0)
	v_cmp_eq_u64_e32 vcc_lo, v[10:11], v[12:13]
	v_mov_b32_e32 v13, v11
	v_mov_b32_e32 v12, v10
	s_or_b32 s16, vcc_lo, s16
	s_andn2_b32 exec_lo, exec_lo, s16
	s_cbranch_execnz .LBB7_214
	s_branch .LBB7_139
.LBB7_215:
                                        ; implicit-def: $vgpr2_vgpr3
	s_cbranch_execnz .LBB7_217
	s_branch .LBB7_244
.LBB7_216:
	s_branch .LBB7_244
.LBB7_217:
	v_readfirstlane_b32 s4, v29
	v_mov_b32_e32 v8, 0
	v_mov_b32_e32 v9, 0
	v_cmp_eq_u32_e64 s4, s4, v29
	s_and_saveexec_b32 s5, s4
	s_cbranch_execz .LBB7_223
; %bb.218:
	s_waitcnt vmcnt(0)
	v_mov_b32_e32 v2, 0
	s_mov_b32 s10, exec_lo
	global_load_dwordx2 v[5:6], v2, s[6:7] offset:24 glc dlc
	s_waitcnt vmcnt(0)
	buffer_gl1_inv
	buffer_gl0_inv
	s_clause 0x1
	global_load_dwordx2 v[3:4], v2, s[6:7] offset:40
	global_load_dwordx2 v[7:8], v2, s[6:7]
	s_waitcnt vmcnt(1)
	v_and_b32_e32 v4, v4, v6
	v_and_b32_e32 v3, v3, v5
	v_mul_lo_u32 v4, v4, 24
	v_mul_hi_u32 v9, v3, 24
	v_mul_lo_u32 v3, v3, 24
	v_add_nc_u32_e32 v4, v9, v4
	s_waitcnt vmcnt(0)
	v_add_co_u32 v3, vcc_lo, v7, v3
	v_add_co_ci_u32_e64 v4, null, v8, v4, vcc_lo
	global_load_dwordx2 v[3:4], v[3:4], off glc dlc
	s_waitcnt vmcnt(0)
	global_atomic_cmpswap_x2 v[8:9], v2, v[3:6], s[6:7] offset:24 glc
	s_waitcnt vmcnt(0)
	buffer_gl1_inv
	buffer_gl0_inv
	v_cmpx_ne_u64_e64 v[8:9], v[5:6]
	s_cbranch_execz .LBB7_222
; %bb.219:
	s_mov_b32 s11, 0
	.p2align	6
.LBB7_220:                              ; =>This Inner Loop Header: Depth=1
	s_sleep 1
	s_clause 0x1
	global_load_dwordx2 v[3:4], v2, s[6:7] offset:40
	global_load_dwordx2 v[10:11], v2, s[6:7]
	v_mov_b32_e32 v5, v8
	v_mov_b32_e32 v6, v9
	s_waitcnt vmcnt(1)
	v_and_b32_e32 v3, v3, v5
	v_and_b32_e32 v4, v4, v6
	s_waitcnt vmcnt(0)
	v_mad_u64_u32 v[7:8], null, v3, 24, v[10:11]
	v_mov_b32_e32 v3, v8
	v_mad_u64_u32 v[3:4], null, v4, 24, v[3:4]
	v_mov_b32_e32 v8, v3
	global_load_dwordx2 v[3:4], v[7:8], off glc dlc
	s_waitcnt vmcnt(0)
	global_atomic_cmpswap_x2 v[8:9], v2, v[3:6], s[6:7] offset:24 glc
	s_waitcnt vmcnt(0)
	buffer_gl1_inv
	buffer_gl0_inv
	v_cmp_eq_u64_e32 vcc_lo, v[8:9], v[5:6]
	s_or_b32 s11, vcc_lo, s11
	s_andn2_b32 exec_lo, exec_lo, s11
	s_cbranch_execnz .LBB7_220
; %bb.221:
	s_or_b32 exec_lo, exec_lo, s11
.LBB7_222:
	s_or_b32 exec_lo, exec_lo, s10
.LBB7_223:
	s_or_b32 exec_lo, exec_lo, s5
	s_waitcnt vmcnt(0)
	v_mov_b32_e32 v2, 0
	v_readfirstlane_b32 s11, v9
	v_readfirstlane_b32 s10, v8
	s_mov_b32 s5, exec_lo
	s_clause 0x1
	global_load_dwordx2 v[10:11], v2, s[6:7] offset:40
	global_load_dwordx4 v[4:7], v2, s[6:7]
	s_waitcnt vmcnt(1)
	v_readfirstlane_b32 s12, v10
	v_readfirstlane_b32 s13, v11
	s_and_b64 s[12:13], s[12:13], s[10:11]
	s_mul_i32 s14, s13, 24
	s_mul_hi_u32 s15, s12, 24
	s_mul_i32 s16, s12, 24
	s_add_i32 s15, s15, s14
	s_waitcnt vmcnt(0)
	v_add_co_u32 v8, vcc_lo, v4, s16
	v_add_co_ci_u32_e64 v9, null, s15, v5, vcc_lo
	s_and_saveexec_b32 s14, s4
	s_cbranch_execz .LBB7_225
; %bb.224:
	v_mov_b32_e32 v10, s5
	v_mov_b32_e32 v11, v2
	v_mov_b32_e32 v12, 2
	v_mov_b32_e32 v13, 1
	global_store_dwordx4 v[8:9], v[10:13], off offset:8
.LBB7_225:
	s_or_b32 exec_lo, exec_lo, s14
	s_lshl_b64 s[12:13], s[12:13], 12
	v_and_or_b32 v0, 0xffffff1f, v0, 32
	v_add_co_u32 v6, vcc_lo, v6, s12
	v_add_co_ci_u32_e64 v7, null, s13, v7, vcc_lo
	s_mov_b32 s12, 0
	v_readfirstlane_b32 s16, v6
	v_add_co_u32 v6, vcc_lo, v6, v28
	s_mov_b32 s13, s12
	s_mov_b32 s14, s12
	;; [unrolled: 1-line block ×3, first 2 shown]
	v_mov_b32_e32 v3, v2
	v_readfirstlane_b32 s17, v7
	v_mov_b32_e32 v10, s12
	v_add_co_ci_u32_e64 v7, null, 0, v7, vcc_lo
	v_mov_b32_e32 v11, s13
	v_mov_b32_e32 v12, s14
	;; [unrolled: 1-line block ×3, first 2 shown]
	global_store_dwordx4 v28, v[0:3], s[16:17]
	global_store_dwordx4 v28, v[10:13], s[16:17] offset:16
	global_store_dwordx4 v28, v[10:13], s[16:17] offset:32
	;; [unrolled: 1-line block ×3, first 2 shown]
	s_and_saveexec_b32 s5, s4
	s_cbranch_execz .LBB7_233
; %bb.226:
	v_mov_b32_e32 v10, 0
	v_mov_b32_e32 v11, s10
	;; [unrolled: 1-line block ×3, first 2 shown]
	s_clause 0x1
	global_load_dwordx2 v[13:14], v10, s[6:7] offset:32 glc dlc
	global_load_dwordx2 v[0:1], v10, s[6:7] offset:40
	s_waitcnt vmcnt(0)
	v_readfirstlane_b32 s12, v0
	v_readfirstlane_b32 s13, v1
	s_and_b64 s[12:13], s[12:13], s[10:11]
	s_mul_i32 s13, s13, 24
	s_mul_hi_u32 s14, s12, 24
	s_mul_i32 s12, s12, 24
	s_add_i32 s14, s14, s13
	v_add_co_u32 v4, vcc_lo, v4, s12
	v_add_co_ci_u32_e64 v5, null, s14, v5, vcc_lo
	s_mov_b32 s12, exec_lo
	global_store_dwordx2 v[4:5], v[13:14], off
	s_waitcnt_vscnt null, 0x0
	global_atomic_cmpswap_x2 v[2:3], v10, v[11:14], s[6:7] offset:32 glc
	s_waitcnt vmcnt(0)
	v_cmpx_ne_u64_e64 v[2:3], v[13:14]
	s_cbranch_execz .LBB7_229
; %bb.227:
	s_mov_b32 s13, 0
.LBB7_228:                              ; =>This Inner Loop Header: Depth=1
	v_mov_b32_e32 v0, s10
	v_mov_b32_e32 v1, s11
	s_sleep 1
	global_store_dwordx2 v[4:5], v[2:3], off
	s_waitcnt_vscnt null, 0x0
	global_atomic_cmpswap_x2 v[0:1], v10, v[0:3], s[6:7] offset:32 glc
	s_waitcnt vmcnt(0)
	v_cmp_eq_u64_e32 vcc_lo, v[0:1], v[2:3]
	v_mov_b32_e32 v3, v1
	v_mov_b32_e32 v2, v0
	s_or_b32 s13, vcc_lo, s13
	s_andn2_b32 exec_lo, exec_lo, s13
	s_cbranch_execnz .LBB7_228
.LBB7_229:
	s_or_b32 exec_lo, exec_lo, s12
	v_mov_b32_e32 v3, 0
	s_mov_b32 s13, exec_lo
	s_mov_b32 s12, exec_lo
	v_mbcnt_lo_u32_b32 v2, s13, 0
	global_load_dwordx2 v[0:1], v3, s[6:7] offset:16
	v_cmpx_eq_u32_e32 0, v2
	s_cbranch_execz .LBB7_231
; %bb.230:
	s_bcnt1_i32_b32 s13, s13
	v_mov_b32_e32 v2, s13
	s_waitcnt vmcnt(0)
	global_atomic_add_x2 v[0:1], v[2:3], off offset:8
.LBB7_231:
	s_or_b32 exec_lo, exec_lo, s12
	s_waitcnt vmcnt(0)
	global_load_dwordx2 v[2:3], v[0:1], off offset:16
	s_waitcnt vmcnt(0)
	v_cmp_eq_u64_e32 vcc_lo, 0, v[2:3]
	s_cbranch_vccnz .LBB7_233
; %bb.232:
	global_load_dword v0, v[0:1], off offset:24
	v_mov_b32_e32 v1, 0
	s_waitcnt vmcnt(0)
	v_readfirstlane_b32 s12, v0
	s_waitcnt_vscnt null, 0x0
	global_store_dwordx2 v[2:3], v[0:1], off
	s_and_b32 m0, s12, 0x7fffff
	s_sendmsg sendmsg(MSG_INTERRUPT)
.LBB7_233:
	s_or_b32 exec_lo, exec_lo, s5
	s_branch .LBB7_237
	.p2align	6
.LBB7_234:                              ;   in Loop: Header=BB7_237 Depth=1
	s_or_b32 exec_lo, exec_lo, s5
	v_readfirstlane_b32 s5, v0
	s_cmp_eq_u32 s5, 0
	s_cbranch_scc1 .LBB7_236
; %bb.235:                              ;   in Loop: Header=BB7_237 Depth=1
	s_sleep 1
	s_cbranch_execnz .LBB7_237
	s_branch .LBB7_239
	.p2align	6
.LBB7_236:
	s_branch .LBB7_239
.LBB7_237:                              ; =>This Inner Loop Header: Depth=1
	v_mov_b32_e32 v0, 1
	s_and_saveexec_b32 s5, s4
	s_cbranch_execz .LBB7_234
; %bb.238:                              ;   in Loop: Header=BB7_237 Depth=1
	global_load_dword v0, v[8:9], off offset:20 glc dlc
	s_waitcnt vmcnt(0)
	buffer_gl1_inv
	buffer_gl0_inv
	v_and_b32_e32 v0, 1, v0
	s_branch .LBB7_234
.LBB7_239:
	global_load_dwordx2 v[2:3], v[6:7], off
	s_and_saveexec_b32 s12, s4
	s_cbranch_execz .LBB7_243
; %bb.240:
	v_mov_b32_e32 v8, 0
	s_clause 0x2
	global_load_dwordx2 v[0:1], v8, s[6:7] offset:40
	global_load_dwordx2 v[11:12], v8, s[6:7] offset:24 glc dlc
	global_load_dwordx2 v[4:5], v8, s[6:7]
	s_waitcnt vmcnt(2)
	v_readfirstlane_b32 s14, v0
	v_readfirstlane_b32 s15, v1
	s_add_u32 s13, s14, 1
	s_addc_u32 s16, s15, 0
	s_add_u32 s4, s13, s10
	s_addc_u32 s5, s16, s11
	s_cmp_eq_u64 s[4:5], 0
	s_cselect_b32 s5, s16, s5
	s_cselect_b32 s4, s13, s4
	v_mov_b32_e32 v10, s5
	s_and_b64 s[10:11], s[4:5], s[14:15]
	v_mov_b32_e32 v9, s4
	s_mul_i32 s11, s11, 24
	s_mul_hi_u32 s13, s10, 24
	s_mul_i32 s10, s10, 24
	s_add_i32 s13, s13, s11
	s_waitcnt vmcnt(0)
	v_add_co_u32 v0, vcc_lo, v4, s10
	v_add_co_ci_u32_e64 v1, null, s13, v5, vcc_lo
	global_store_dwordx2 v[0:1], v[11:12], off
	s_waitcnt_vscnt null, 0x0
	global_atomic_cmpswap_x2 v[6:7], v8, v[9:12], s[6:7] offset:24 glc
	s_waitcnt vmcnt(0)
	v_cmp_ne_u64_e32 vcc_lo, v[6:7], v[11:12]
	s_and_b32 exec_lo, exec_lo, vcc_lo
	s_cbranch_execz .LBB7_243
; %bb.241:
	s_mov_b32 s10, 0
.LBB7_242:                              ; =>This Inner Loop Header: Depth=1
	v_mov_b32_e32 v4, s4
	v_mov_b32_e32 v5, s5
	s_sleep 1
	global_store_dwordx2 v[0:1], v[6:7], off
	s_waitcnt_vscnt null, 0x0
	global_atomic_cmpswap_x2 v[4:5], v8, v[4:7], s[6:7] offset:24 glc
	s_waitcnt vmcnt(0)
	v_cmp_eq_u64_e32 vcc_lo, v[4:5], v[6:7]
	v_mov_b32_e32 v7, v5
	v_mov_b32_e32 v6, v4
	s_or_b32 s10, vcc_lo, s10
	s_andn2_b32 exec_lo, exec_lo, s10
	s_cbranch_execnz .LBB7_242
.LBB7_243:
	s_or_b32 exec_lo, exec_lo, s12
.LBB7_244:
	v_readfirstlane_b32 s4, v29
	s_waitcnt vmcnt(0)
	v_mov_b32_e32 v0, 0
	v_mov_b32_e32 v1, 0
	v_cmp_eq_u32_e64 s4, s4, v29
	s_and_saveexec_b32 s5, s4
	s_cbranch_execz .LBB7_250
; %bb.245:
	v_mov_b32_e32 v4, 0
	s_mov_b32 s10, exec_lo
	global_load_dwordx2 v[7:8], v4, s[6:7] offset:24 glc dlc
	s_waitcnt vmcnt(0)
	buffer_gl1_inv
	buffer_gl0_inv
	s_clause 0x1
	global_load_dwordx2 v[0:1], v4, s[6:7] offset:40
	global_load_dwordx2 v[5:6], v4, s[6:7]
	s_waitcnt vmcnt(1)
	v_and_b32_e32 v1, v1, v8
	v_and_b32_e32 v0, v0, v7
	v_mul_lo_u32 v1, v1, 24
	v_mul_hi_u32 v9, v0, 24
	v_mul_lo_u32 v0, v0, 24
	v_add_nc_u32_e32 v1, v9, v1
	s_waitcnt vmcnt(0)
	v_add_co_u32 v0, vcc_lo, v5, v0
	v_add_co_ci_u32_e64 v1, null, v6, v1, vcc_lo
	global_load_dwordx2 v[5:6], v[0:1], off glc dlc
	s_waitcnt vmcnt(0)
	global_atomic_cmpswap_x2 v[0:1], v4, v[5:8], s[6:7] offset:24 glc
	s_waitcnt vmcnt(0)
	buffer_gl1_inv
	buffer_gl0_inv
	v_cmpx_ne_u64_e64 v[0:1], v[7:8]
	s_cbranch_execz .LBB7_249
; %bb.246:
	s_mov_b32 s11, 0
	.p2align	6
.LBB7_247:                              ; =>This Inner Loop Header: Depth=1
	s_sleep 1
	s_clause 0x1
	global_load_dwordx2 v[5:6], v4, s[6:7] offset:40
	global_load_dwordx2 v[9:10], v4, s[6:7]
	v_mov_b32_e32 v8, v1
	v_mov_b32_e32 v7, v0
	s_waitcnt vmcnt(1)
	v_and_b32_e32 v0, v5, v7
	v_and_b32_e32 v5, v6, v8
	s_waitcnt vmcnt(0)
	v_mad_u64_u32 v[0:1], null, v0, 24, v[9:10]
	v_mad_u64_u32 v[5:6], null, v5, 24, v[1:2]
	v_mov_b32_e32 v1, v5
	global_load_dwordx2 v[5:6], v[0:1], off glc dlc
	s_waitcnt vmcnt(0)
	global_atomic_cmpswap_x2 v[0:1], v4, v[5:8], s[6:7] offset:24 glc
	s_waitcnt vmcnt(0)
	buffer_gl1_inv
	buffer_gl0_inv
	v_cmp_eq_u64_e32 vcc_lo, v[0:1], v[7:8]
	s_or_b32 s11, vcc_lo, s11
	s_andn2_b32 exec_lo, exec_lo, s11
	s_cbranch_execnz .LBB7_247
; %bb.248:
	s_or_b32 exec_lo, exec_lo, s11
.LBB7_249:
	s_or_b32 exec_lo, exec_lo, s10
.LBB7_250:
	s_or_b32 exec_lo, exec_lo, s5
	v_mov_b32_e32 v5, 0
	v_readfirstlane_b32 s11, v1
	v_readfirstlane_b32 s10, v0
	s_mov_b32 s5, exec_lo
	s_clause 0x1
	global_load_dwordx2 v[10:11], v5, s[6:7] offset:40
	global_load_dwordx4 v[6:9], v5, s[6:7]
	s_waitcnt vmcnt(1)
	v_readfirstlane_b32 s12, v10
	v_readfirstlane_b32 s13, v11
	s_and_b64 s[12:13], s[12:13], s[10:11]
	s_mul_i32 s14, s13, 24
	s_mul_hi_u32 s15, s12, 24
	s_mul_i32 s16, s12, 24
	s_add_i32 s15, s15, s14
	s_waitcnt vmcnt(0)
	v_add_co_u32 v10, vcc_lo, v6, s16
	v_add_co_ci_u32_e64 v11, null, s15, v7, vcc_lo
	s_and_saveexec_b32 s14, s4
	s_cbranch_execz .LBB7_252
; %bb.251:
	v_mov_b32_e32 v4, s5
	v_mov_b32_e32 v13, v5
	;; [unrolled: 1-line block ×5, first 2 shown]
	global_store_dwordx4 v[10:11], v[12:15], off offset:8
.LBB7_252:
	s_or_b32 exec_lo, exec_lo, s14
	s_lshl_b64 s[12:13], s[12:13], 12
	v_and_or_b32 v2, 0xffffff1f, v2, 32
	v_add_co_u32 v0, vcc_lo, v8, s12
	v_add_co_ci_u32_e64 v1, null, s13, v9, vcc_lo
	s_mov_b32 s12, 0
	v_add_co_u32 v8, vcc_lo, v0, v28
	s_mov_b32 s13, s12
	s_mov_b32 s14, s12
	;; [unrolled: 1-line block ×3, first 2 shown]
	v_mov_b32_e32 v4, 0x41
	v_readfirstlane_b32 s16, v0
	v_readfirstlane_b32 s17, v1
	v_mov_b32_e32 v12, s12
	v_add_co_ci_u32_e64 v9, null, 0, v1, vcc_lo
	v_mov_b32_e32 v13, s13
	v_mov_b32_e32 v14, s14
	;; [unrolled: 1-line block ×3, first 2 shown]
	global_store_dwordx4 v28, v[2:5], s[16:17]
	global_store_dwordx4 v28, v[12:15], s[16:17] offset:16
	global_store_dwordx4 v28, v[12:15], s[16:17] offset:32
	;; [unrolled: 1-line block ×3, first 2 shown]
	s_and_saveexec_b32 s5, s4
	s_cbranch_execz .LBB7_260
; %bb.253:
	v_mov_b32_e32 v12, 0
	v_mov_b32_e32 v13, s10
	v_mov_b32_e32 v14, s11
	s_clause 0x1
	global_load_dwordx2 v[15:16], v12, s[6:7] offset:32 glc dlc
	global_load_dwordx2 v[0:1], v12, s[6:7] offset:40
	s_waitcnt vmcnt(0)
	v_readfirstlane_b32 s12, v0
	v_readfirstlane_b32 s13, v1
	s_and_b64 s[12:13], s[12:13], s[10:11]
	s_mul_i32 s13, s13, 24
	s_mul_hi_u32 s14, s12, 24
	s_mul_i32 s12, s12, 24
	s_add_i32 s14, s14, s13
	v_add_co_u32 v4, vcc_lo, v6, s12
	v_add_co_ci_u32_e64 v5, null, s14, v7, vcc_lo
	s_mov_b32 s12, exec_lo
	global_store_dwordx2 v[4:5], v[15:16], off
	s_waitcnt_vscnt null, 0x0
	global_atomic_cmpswap_x2 v[2:3], v12, v[13:16], s[6:7] offset:32 glc
	s_waitcnt vmcnt(0)
	v_cmpx_ne_u64_e64 v[2:3], v[15:16]
	s_cbranch_execz .LBB7_256
; %bb.254:
	s_mov_b32 s13, 0
.LBB7_255:                              ; =>This Inner Loop Header: Depth=1
	v_mov_b32_e32 v0, s10
	v_mov_b32_e32 v1, s11
	s_sleep 1
	global_store_dwordx2 v[4:5], v[2:3], off
	s_waitcnt_vscnt null, 0x0
	global_atomic_cmpswap_x2 v[0:1], v12, v[0:3], s[6:7] offset:32 glc
	s_waitcnt vmcnt(0)
	v_cmp_eq_u64_e32 vcc_lo, v[0:1], v[2:3]
	v_mov_b32_e32 v3, v1
	v_mov_b32_e32 v2, v0
	s_or_b32 s13, vcc_lo, s13
	s_andn2_b32 exec_lo, exec_lo, s13
	s_cbranch_execnz .LBB7_255
.LBB7_256:
	s_or_b32 exec_lo, exec_lo, s12
	v_mov_b32_e32 v3, 0
	s_mov_b32 s13, exec_lo
	s_mov_b32 s12, exec_lo
	v_mbcnt_lo_u32_b32 v2, s13, 0
	global_load_dwordx2 v[0:1], v3, s[6:7] offset:16
	v_cmpx_eq_u32_e32 0, v2
	s_cbranch_execz .LBB7_258
; %bb.257:
	s_bcnt1_i32_b32 s13, s13
	v_mov_b32_e32 v2, s13
	s_waitcnt vmcnt(0)
	global_atomic_add_x2 v[0:1], v[2:3], off offset:8
.LBB7_258:
	s_or_b32 exec_lo, exec_lo, s12
	s_waitcnt vmcnt(0)
	global_load_dwordx2 v[2:3], v[0:1], off offset:16
	s_waitcnt vmcnt(0)
	v_cmp_eq_u64_e32 vcc_lo, 0, v[2:3]
	s_cbranch_vccnz .LBB7_260
; %bb.259:
	global_load_dword v0, v[0:1], off offset:24
	v_mov_b32_e32 v1, 0
	s_waitcnt vmcnt(0)
	v_readfirstlane_b32 s12, v0
	s_waitcnt_vscnt null, 0x0
	global_store_dwordx2 v[2:3], v[0:1], off
	s_and_b32 m0, s12, 0x7fffff
	s_sendmsg sendmsg(MSG_INTERRUPT)
.LBB7_260:
	s_or_b32 exec_lo, exec_lo, s5
	s_branch .LBB7_264
	.p2align	6
.LBB7_261:                              ;   in Loop: Header=BB7_264 Depth=1
	s_or_b32 exec_lo, exec_lo, s5
	v_readfirstlane_b32 s5, v0
	s_cmp_eq_u32 s5, 0
	s_cbranch_scc1 .LBB7_263
; %bb.262:                              ;   in Loop: Header=BB7_264 Depth=1
	s_sleep 1
	s_cbranch_execnz .LBB7_264
	s_branch .LBB7_266
	.p2align	6
.LBB7_263:
	s_branch .LBB7_266
.LBB7_264:                              ; =>This Inner Loop Header: Depth=1
	v_mov_b32_e32 v0, 1
	s_and_saveexec_b32 s5, s4
	s_cbranch_execz .LBB7_261
; %bb.265:                              ;   in Loop: Header=BB7_264 Depth=1
	global_load_dword v0, v[10:11], off offset:20 glc dlc
	s_waitcnt vmcnt(0)
	buffer_gl1_inv
	buffer_gl0_inv
	v_and_b32_e32 v0, 1, v0
	s_branch .LBB7_261
.LBB7_266:
	global_load_dwordx2 v[0:1], v[8:9], off
	s_and_saveexec_b32 s12, s4
	s_cbranch_execz .LBB7_270
; %bb.267:
	v_mov_b32_e32 v8, 0
	s_clause 0x2
	global_load_dwordx2 v[2:3], v8, s[6:7] offset:40
	global_load_dwordx2 v[11:12], v8, s[6:7] offset:24 glc dlc
	global_load_dwordx2 v[4:5], v8, s[6:7]
	s_waitcnt vmcnt(2)
	v_readfirstlane_b32 s14, v2
	v_readfirstlane_b32 s15, v3
	s_add_u32 s13, s14, 1
	s_addc_u32 s16, s15, 0
	s_add_u32 s4, s13, s10
	s_addc_u32 s5, s16, s11
	s_cmp_eq_u64 s[4:5], 0
	s_cselect_b32 s5, s16, s5
	s_cselect_b32 s4, s13, s4
	v_mov_b32_e32 v10, s5
	s_and_b64 s[10:11], s[4:5], s[14:15]
	v_mov_b32_e32 v9, s4
	s_mul_i32 s11, s11, 24
	s_mul_hi_u32 s13, s10, 24
	s_mul_i32 s10, s10, 24
	s_add_i32 s13, s13, s11
	s_waitcnt vmcnt(0)
	v_add_co_u32 v6, vcc_lo, v4, s10
	v_add_co_ci_u32_e64 v7, null, s13, v5, vcc_lo
	global_store_dwordx2 v[6:7], v[11:12], off
	s_waitcnt_vscnt null, 0x0
	global_atomic_cmpswap_x2 v[4:5], v8, v[9:12], s[6:7] offset:24 glc
	s_waitcnt vmcnt(0)
	v_cmp_ne_u64_e32 vcc_lo, v[4:5], v[11:12]
	s_and_b32 exec_lo, exec_lo, vcc_lo
	s_cbranch_execz .LBB7_270
; %bb.268:
	s_mov_b32 s10, 0
.LBB7_269:                              ; =>This Inner Loop Header: Depth=1
	v_mov_b32_e32 v2, s4
	v_mov_b32_e32 v3, s5
	s_sleep 1
	global_store_dwordx2 v[6:7], v[4:5], off
	s_waitcnt_vscnt null, 0x0
	global_atomic_cmpswap_x2 v[2:3], v8, v[2:5], s[6:7] offset:24 glc
	s_waitcnt vmcnt(0)
	v_cmp_eq_u64_e32 vcc_lo, v[2:3], v[4:5]
	v_mov_b32_e32 v5, v3
	v_mov_b32_e32 v4, v2
	s_or_b32 s10, vcc_lo, s10
	s_andn2_b32 exec_lo, exec_lo, s10
	s_cbranch_execnz .LBB7_269
.LBB7_270:
	s_or_b32 exec_lo, exec_lo, s12
	s_getpc_b64 s[4:5]
	s_add_u32 s4, s4, __FUNCTION__._ZL18flash_attn_ext_vecILi64ELi1EL9ggml_type2ELS0_8ELb1EEvPKcS2_S2_S2_S2_PKiPfP15HIP_vector_typeIfLj2EEffffjfiS6_IjLj3EEiiiiiiiiiiiliiliiiiil@rel32@lo+4
	s_addc_u32 s5, s5, __FUNCTION__._ZL18flash_attn_ext_vecILi64ELi1EL9ggml_type2ELS0_8ELb1EEvPKcS2_S2_S2_S2_PKiPfP15HIP_vector_typeIfLj2EEffffjfiS6_IjLj3EEiiiiiiiiiiiliiliiiiil@rel32@hi+12
	v_mov_b32_e32 v2, s4
	s_cmp_lg_u64 s[4:5], 0
	v_mov_b32_e32 v3, s5
	s_cselect_b32 s10, 19, 0
	v_mov_b32_e32 v5, 0
	v_mov_b32_e32 v4, s10
	s_getpc_b64 s[6:7]
	s_add_u32 s6, s6, __ockl_printf_append_string_n@rel32@lo+4
	s_addc_u32 s7, s7, __ockl_printf_append_string_n@rel32@hi+12
	s_mov_b64 s[20:21], s[8:9]
	s_swappc_b64 s[30:31], s[6:7]
	v_mov_b32_e32 v2, 0x514
	v_mov_b32_e32 v3, 0
	;; [unrolled: 1-line block ×3, first 2 shown]
	s_getpc_b64 s[4:5]
	s_add_u32 s4, s4, __ockl_printf_append_args@rel32@lo+4
	s_addc_u32 s5, s5, __ockl_printf_append_args@rel32@hi+12
	s_mov_b64 s[8:9], s[20:21]
	s_swappc_b64 s[30:31], s[4:5]
	s_trap 2
.Lfunc_end7:
	.size	_ZL14no_device_codePKciS0_iS0_, .Lfunc_end7-_ZL14no_device_codePKciS0_iS0_
                                        ; -- End function
	.set .L_ZL14no_device_codePKciS0_iS0_.num_vgpr, max(40, .L__ockl_printf_append_string_n.num_vgpr, .L__ockl_printf_append_args.num_vgpr)
	.set .L_ZL14no_device_codePKciS0_iS0_.num_agpr, max(0, .L__ockl_printf_append_string_n.num_agpr, .L__ockl_printf_append_args.num_agpr)
	.set .L_ZL14no_device_codePKciS0_iS0_.numbered_sgpr, max(34, .L__ockl_printf_append_string_n.numbered_sgpr, .L__ockl_printf_append_args.numbered_sgpr)
	.set .L_ZL14no_device_codePKciS0_iS0_.num_named_barrier, max(0, .L__ockl_printf_append_string_n.num_named_barrier, .L__ockl_printf_append_args.num_named_barrier)
	.set .L_ZL14no_device_codePKciS0_iS0_.private_seg_size, 16+max(.L__ockl_printf_append_string_n.private_seg_size, .L__ockl_printf_append_args.private_seg_size)
	.set .L_ZL14no_device_codePKciS0_iS0_.uses_vcc, or(1, .L__ockl_printf_append_string_n.uses_vcc, .L__ockl_printf_append_args.uses_vcc)
	.set .L_ZL14no_device_codePKciS0_iS0_.uses_flat_scratch, or(0, .L__ockl_printf_append_string_n.uses_flat_scratch, .L__ockl_printf_append_args.uses_flat_scratch)
	.set .L_ZL14no_device_codePKciS0_iS0_.has_dyn_sized_stack, or(0, .L__ockl_printf_append_string_n.has_dyn_sized_stack, .L__ockl_printf_append_args.has_dyn_sized_stack)
	.set .L_ZL14no_device_codePKciS0_iS0_.has_recursion, or(0, .L__ockl_printf_append_string_n.has_recursion, .L__ockl_printf_append_args.has_recursion)
	.set .L_ZL14no_device_codePKciS0_iS0_.has_indirect_call, or(0, .L__ockl_printf_append_string_n.has_indirect_call, .L__ockl_printf_append_args.has_indirect_call)
	.section	.AMDGPU.csdata,"",@progbits
; Function info:
; codeLenInByte = 10460
; TotalNumSgprs: 36
; NumVgprs: 40
; ScratchSize: 16
; MemoryBound: 0
	.section	.text._ZL18flash_attn_ext_vecILi64ELi1EL9ggml_type2ELS0_8ELb1EEvPKcS2_S2_S2_S2_PKiPfP15HIP_vector_typeIfLj2EEffffjfiS6_IjLj3EEiiiiiiiiiiiliiliiiiil,"axG",@progbits,_ZL18flash_attn_ext_vecILi64ELi1EL9ggml_type2ELS0_8ELb1EEvPKcS2_S2_S2_S2_PKiPfP15HIP_vector_typeIfLj2EEffffjfiS6_IjLj3EEiiiiiiiiiiiliiliiiiil,comdat
	.globl	_ZL18flash_attn_ext_vecILi64ELi1EL9ggml_type2ELS0_8ELb1EEvPKcS2_S2_S2_S2_PKiPfP15HIP_vector_typeIfLj2EEffffjfiS6_IjLj3EEiiiiiiiiiiiliiliiiiil ; -- Begin function _ZL18flash_attn_ext_vecILi64ELi1EL9ggml_type2ELS0_8ELb1EEvPKcS2_S2_S2_S2_PKiPfP15HIP_vector_typeIfLj2EEffffjfiS6_IjLj3EEiiiiiiiiiiiliiliiiiil
	.p2align	8
	.type	_ZL18flash_attn_ext_vecILi64ELi1EL9ggml_type2ELS0_8ELb1EEvPKcS2_S2_S2_S2_PKiPfP15HIP_vector_typeIfLj2EEffffjfiS6_IjLj3EEiiiiiiiiiiiliiliiiiil,@function
_ZL18flash_attn_ext_vecILi64ELi1EL9ggml_type2ELS0_8ELb1EEvPKcS2_S2_S2_S2_PKiPfP15HIP_vector_typeIfLj2EEffffjfiS6_IjLj3EEiiiiiiiiiiiliiliiiiil: ; @_ZL18flash_attn_ext_vecILi64ELi1EL9ggml_type2ELS0_8ELb1EEvPKcS2_S2_S2_S2_PKiPfP15HIP_vector_typeIfLj2EEffffjfiS6_IjLj3EEiiiiiiiiiiiliiliiiiil
; %bb.0:
	s_add_u32 s0, s0, s7
	s_addc_u32 s1, s1, 0
	s_add_u32 s8, s4, 0xd0
	s_addc_u32 s9, s5, 0
	s_getpc_b64 s[4:5]
	s_add_u32 s4, s4, _ZL14no_device_codePKciS0_iS0_@rel32@lo+4
	s_addc_u32 s5, s5, _ZL14no_device_codePKciS0_iS0_@rel32@hi+12
	s_mov_b32 s32, 0
	s_swappc_b64 s[30:31], s[4:5]
	.section	.rodata,"a",@progbits
	.p2align	6, 0x0
	.amdhsa_kernel _ZL18flash_attn_ext_vecILi64ELi1EL9ggml_type2ELS0_8ELb1EEvPKcS2_S2_S2_S2_PKiPfP15HIP_vector_typeIfLj2EEffffjfiS6_IjLj3EEiiiiiiiiiiiliiliiiiil
		.amdhsa_group_segment_fixed_size 0
		.amdhsa_private_segment_fixed_size 16
		.amdhsa_kernarg_size 464
		.amdhsa_user_sgpr_count 6
		.amdhsa_user_sgpr_private_segment_buffer 1
		.amdhsa_user_sgpr_dispatch_ptr 0
		.amdhsa_user_sgpr_queue_ptr 0
		.amdhsa_user_sgpr_kernarg_segment_ptr 1
		.amdhsa_user_sgpr_dispatch_id 0
		.amdhsa_user_sgpr_flat_scratch_init 0
		.amdhsa_user_sgpr_private_segment_size 0
		.amdhsa_wavefront_size32 1
		.amdhsa_uses_dynamic_stack 0
		.amdhsa_system_sgpr_private_segment_wavefront_offset 1
		.amdhsa_system_sgpr_workgroup_id_x 1
		.amdhsa_system_sgpr_workgroup_id_y 0
		.amdhsa_system_sgpr_workgroup_id_z 0
		.amdhsa_system_sgpr_workgroup_info 0
		.amdhsa_system_vgpr_workitem_id 0
		.amdhsa_next_free_vgpr 40
		.amdhsa_next_free_sgpr 34
		.amdhsa_reserve_vcc 1
		.amdhsa_reserve_flat_scratch 0
		.amdhsa_float_round_mode_32 0
		.amdhsa_float_round_mode_16_64 0
		.amdhsa_float_denorm_mode_32 3
		.amdhsa_float_denorm_mode_16_64 3
		.amdhsa_dx10_clamp 1
		.amdhsa_ieee_mode 1
		.amdhsa_fp16_overflow 0
		.amdhsa_workgroup_processor_mode 1
		.amdhsa_memory_ordered 1
		.amdhsa_forward_progress 1
		.amdhsa_shared_vgpr_count 0
		.amdhsa_exception_fp_ieee_invalid_op 0
		.amdhsa_exception_fp_denorm_src 0
		.amdhsa_exception_fp_ieee_div_zero 0
		.amdhsa_exception_fp_ieee_overflow 0
		.amdhsa_exception_fp_ieee_underflow 0
		.amdhsa_exception_fp_ieee_inexact 0
		.amdhsa_exception_int_div_zero 0
	.end_amdhsa_kernel
	.section	.text._ZL18flash_attn_ext_vecILi64ELi1EL9ggml_type2ELS0_8ELb1EEvPKcS2_S2_S2_S2_PKiPfP15HIP_vector_typeIfLj2EEffffjfiS6_IjLj3EEiiiiiiiiiiiliiliiiiil,"axG",@progbits,_ZL18flash_attn_ext_vecILi64ELi1EL9ggml_type2ELS0_8ELb1EEvPKcS2_S2_S2_S2_PKiPfP15HIP_vector_typeIfLj2EEffffjfiS6_IjLj3EEiiiiiiiiiiiliiliiiiil,comdat
.Lfunc_end8:
	.size	_ZL18flash_attn_ext_vecILi64ELi1EL9ggml_type2ELS0_8ELb1EEvPKcS2_S2_S2_S2_PKiPfP15HIP_vector_typeIfLj2EEffffjfiS6_IjLj3EEiiiiiiiiiiiliiliiiiil, .Lfunc_end8-_ZL18flash_attn_ext_vecILi64ELi1EL9ggml_type2ELS0_8ELb1EEvPKcS2_S2_S2_S2_PKiPfP15HIP_vector_typeIfLj2EEffffjfiS6_IjLj3EEiiiiiiiiiiiliiliiiiil
                                        ; -- End function
	.set _ZL18flash_attn_ext_vecILi64ELi1EL9ggml_type2ELS0_8ELb1EEvPKcS2_S2_S2_S2_PKiPfP15HIP_vector_typeIfLj2EEffffjfiS6_IjLj3EEiiiiiiiiiiiliiliiiiil.num_vgpr, max(0, .L_ZL14no_device_codePKciS0_iS0_.num_vgpr)
	.set _ZL18flash_attn_ext_vecILi64ELi1EL9ggml_type2ELS0_8ELb1EEvPKcS2_S2_S2_S2_PKiPfP15HIP_vector_typeIfLj2EEffffjfiS6_IjLj3EEiiiiiiiiiiiliiliiiiil.num_agpr, max(0, .L_ZL14no_device_codePKciS0_iS0_.num_agpr)
	.set _ZL18flash_attn_ext_vecILi64ELi1EL9ggml_type2ELS0_8ELb1EEvPKcS2_S2_S2_S2_PKiPfP15HIP_vector_typeIfLj2EEffffjfiS6_IjLj3EEiiiiiiiiiiiliiliiiiil.numbered_sgpr, max(33, .L_ZL14no_device_codePKciS0_iS0_.numbered_sgpr)
	.set _ZL18flash_attn_ext_vecILi64ELi1EL9ggml_type2ELS0_8ELb1EEvPKcS2_S2_S2_S2_PKiPfP15HIP_vector_typeIfLj2EEffffjfiS6_IjLj3EEiiiiiiiiiiiliiliiiiil.num_named_barrier, max(0, .L_ZL14no_device_codePKciS0_iS0_.num_named_barrier)
	.set _ZL18flash_attn_ext_vecILi64ELi1EL9ggml_type2ELS0_8ELb1EEvPKcS2_S2_S2_S2_PKiPfP15HIP_vector_typeIfLj2EEffffjfiS6_IjLj3EEiiiiiiiiiiiliiliiiiil.private_seg_size, 0+max(.L_ZL14no_device_codePKciS0_iS0_.private_seg_size)
	.set _ZL18flash_attn_ext_vecILi64ELi1EL9ggml_type2ELS0_8ELb1EEvPKcS2_S2_S2_S2_PKiPfP15HIP_vector_typeIfLj2EEffffjfiS6_IjLj3EEiiiiiiiiiiiliiliiiiil.uses_vcc, or(1, .L_ZL14no_device_codePKciS0_iS0_.uses_vcc)
	.set _ZL18flash_attn_ext_vecILi64ELi1EL9ggml_type2ELS0_8ELb1EEvPKcS2_S2_S2_S2_PKiPfP15HIP_vector_typeIfLj2EEffffjfiS6_IjLj3EEiiiiiiiiiiiliiliiiiil.uses_flat_scratch, or(0, .L_ZL14no_device_codePKciS0_iS0_.uses_flat_scratch)
	.set _ZL18flash_attn_ext_vecILi64ELi1EL9ggml_type2ELS0_8ELb1EEvPKcS2_S2_S2_S2_PKiPfP15HIP_vector_typeIfLj2EEffffjfiS6_IjLj3EEiiiiiiiiiiiliiliiiiil.has_dyn_sized_stack, or(0, .L_ZL14no_device_codePKciS0_iS0_.has_dyn_sized_stack)
	.set _ZL18flash_attn_ext_vecILi64ELi1EL9ggml_type2ELS0_8ELb1EEvPKcS2_S2_S2_S2_PKiPfP15HIP_vector_typeIfLj2EEffffjfiS6_IjLj3EEiiiiiiiiiiiliiliiiiil.has_recursion, or(0, .L_ZL14no_device_codePKciS0_iS0_.has_recursion)
	.set _ZL18flash_attn_ext_vecILi64ELi1EL9ggml_type2ELS0_8ELb1EEvPKcS2_S2_S2_S2_PKiPfP15HIP_vector_typeIfLj2EEffffjfiS6_IjLj3EEiiiiiiiiiiiliiliiiiil.has_indirect_call, or(0, .L_ZL14no_device_codePKciS0_iS0_.has_indirect_call)
	.section	.AMDGPU.csdata,"",@progbits
; Kernel info:
; codeLenInByte = 48
; TotalNumSgprs: 36
; NumVgprs: 40
; ScratchSize: 16
; MemoryBound: 0
; FloatMode: 240
; IeeeMode: 1
; LDSByteSize: 0 bytes/workgroup (compile time only)
; SGPRBlocks: 0
; VGPRBlocks: 4
; NumSGPRsForWavesPerEU: 36
; NumVGPRsForWavesPerEU: 40
; Occupancy: 16
; WaveLimiterHint : 1
; COMPUTE_PGM_RSRC2:SCRATCH_EN: 1
; COMPUTE_PGM_RSRC2:USER_SGPR: 6
; COMPUTE_PGM_RSRC2:TRAP_HANDLER: 0
; COMPUTE_PGM_RSRC2:TGID_X_EN: 1
; COMPUTE_PGM_RSRC2:TGID_Y_EN: 0
; COMPUTE_PGM_RSRC2:TGID_Z_EN: 0
; COMPUTE_PGM_RSRC2:TIDIG_COMP_CNT: 0
	.section	.text._ZL18flash_attn_ext_vecILi64ELi2EL9ggml_type2ELS0_8ELb0EEvPKcS2_S2_S2_S2_PKiPfP15HIP_vector_typeIfLj2EEffffjfiS6_IjLj3EEiiiiiiiiiiiliiliiiiil,"axG",@progbits,_ZL18flash_attn_ext_vecILi64ELi2EL9ggml_type2ELS0_8ELb0EEvPKcS2_S2_S2_S2_PKiPfP15HIP_vector_typeIfLj2EEffffjfiS6_IjLj3EEiiiiiiiiiiiliiliiiiil,comdat
	.globl	_ZL18flash_attn_ext_vecILi64ELi2EL9ggml_type2ELS0_8ELb0EEvPKcS2_S2_S2_S2_PKiPfP15HIP_vector_typeIfLj2EEffffjfiS6_IjLj3EEiiiiiiiiiiiliiliiiiil ; -- Begin function _ZL18flash_attn_ext_vecILi64ELi2EL9ggml_type2ELS0_8ELb0EEvPKcS2_S2_S2_S2_PKiPfP15HIP_vector_typeIfLj2EEffffjfiS6_IjLj3EEiiiiiiiiiiiliiliiiiil
	.p2align	8
	.type	_ZL18flash_attn_ext_vecILi64ELi2EL9ggml_type2ELS0_8ELb0EEvPKcS2_S2_S2_S2_PKiPfP15HIP_vector_typeIfLj2EEffffjfiS6_IjLj3EEiiiiiiiiiiiliiliiiiil,@function
_ZL18flash_attn_ext_vecILi64ELi2EL9ggml_type2ELS0_8ELb0EEvPKcS2_S2_S2_S2_PKiPfP15HIP_vector_typeIfLj2EEffffjfiS6_IjLj3EEiiiiiiiiiiiliiliiiiil: ; @_ZL18flash_attn_ext_vecILi64ELi2EL9ggml_type2ELS0_8ELb0EEvPKcS2_S2_S2_S2_PKiPfP15HIP_vector_typeIfLj2EEffffjfiS6_IjLj3EEiiiiiiiiiiiliiliiiiil
; %bb.0:
	s_clause 0x2
	s_load_dwordx2 s[36:37], s[6:7], 0x64
	s_load_dwordx2 s[40:41], s[6:7], 0x80
	;; [unrolled: 1-line block ×3, first 2 shown]
	s_mov_b32 s34, s9
	s_load_dwordx4 s[28:31], s[6:7], 0x40
	v_mov_b32_e32 v36, 1.0
	s_waitcnt lgkmcnt(0)
	v_cvt_f32_u32_e32 v3, s37
	s_sub_i32 s1, 0, s37
	v_rcp_iflag_f32_e32 v3, v3
	v_mul_f32_e32 v3, 0x4f7ffffe, v3
	v_cvt_u32_f32_e32 v3, v3
	v_readfirstlane_b32 s0, v3
	s_mul_i32 s1, s1, s0
	s_mul_hi_u32 s1, s0, s1
	s_add_i32 s0, s0, s1
	s_mul_hi_u32 s0, s10, s0
	s_mul_i32 s1, s0, s37
	s_add_i32 s2, s0, 1
	s_sub_i32 s1, s10, s1
	s_sub_i32 s3, s1, s37
	s_cmp_ge_u32 s1, s37
	s_cselect_b32 s0, s2, s0
	s_cselect_b32 s1, s3, s1
	s_add_i32 s2, s0, 1
	s_cmp_ge_u32 s1, s37
	s_cselect_b32 s33, s2, s0
	s_abs_i32 s0, s41
	s_abs_i32 s9, s37
	v_cvt_f32_u32_e32 v3, s0
	s_sub_i32 s2, 0, s0
	s_xor_b32 s3, s37, s41
	s_ashr_i32 s3, s3, 31
	v_rcp_iflag_f32_e32 v3, v3
	v_mul_f32_e32 v3, 0x4f7ffffe, v3
	v_cvt_u32_f32_e32 v3, v3
	v_readfirstlane_b32 s1, v3
	s_mul_i32 s2, s2, s1
	s_mul_hi_u32 s2, s1, s2
	s_add_i32 s1, s1, s2
	s_mul_i32 s2, s33, s37
	s_mul_hi_u32 s1, s9, s1
	s_sub_i32 s38, s10, s2
	s_mul_i32 s11, s1, s0
	s_sub_i32 s2, s9, s11
	s_add_i32 s9, s1, 1
	s_sub_i32 s10, s2, s0
	s_cmp_ge_u32 s2, s0
	s_cselect_b32 s1, s9, s1
	s_cselect_b32 s2, s10, s2
	s_add_i32 s9, s1, 1
	s_cmp_ge_u32 s2, s0
	s_cselect_b32 s0, s9, s1
	s_abs_i32 s35, s42
	s_xor_b32 s0, s0, s3
	v_cvt_f32_u32_e32 v3, s35
	s_sub_i32 s41, s0, s3
	s_load_dword s0, s[6:7], 0x50
	s_abs_i32 s39, s41
	v_cmp_le_f32_e64 s1, s29, 0
	v_cvt_f32_u32_e32 v4, s39
	v_rcp_iflag_f32_e32 v3, v3
	s_and_b32 vcc_lo, exec_lo, s1
	v_rcp_iflag_f32_e32 v4, v4
	v_mul_f32_e32 v3, 0x4f7ffffe, v3
	v_mul_f32_e32 v4, 0x4f7ffffe, v4
	v_cvt_u32_f32_e32 v3, v3
	v_cvt_u32_f32_e32 v4, v4
	v_readfirstlane_b32 s29, v3
	v_readfirstlane_b32 s42, v4
	s_cbranch_vccnz .LBB9_2
; %bb.1:
	s_waitcnt lgkmcnt(0)
	v_sub_co_u32 v4, vcc_lo, s38, s0
	v_mov_b32_e32 v3, s30
	s_add_i32 s0, s38, 1
	v_lshlrev_b32_e32 v4, 1, v4
	v_cndmask_b32_e32 v3, s31, v3, vcc_lo
	v_or_b32_e32 v4, 1, v4
	v_cndmask_b32_e64 v4, v4, s0, vcc_lo
	v_cmp_neq_f32_e32 vcc_lo, 1.0, v3
	s_mov_b32 s0, 0x3e76c4e1
	v_cvt_f32_i32_e32 v4, v4
	v_cndmask_b32_e32 v5, 1.0, v4, vcc_lo
	v_cmp_neq_f32_e32 vcc_lo, 0, v5
	v_cndmask_b32_e32 v6, 1.0, v3, vcc_lo
	v_frexp_mant_f32_e64 v3, |v6|
	v_cmp_eq_f32_e64 s2, 0, v6
	v_cmp_gt_f32_e32 vcc_lo, 0x3f2aaaab, v3
	v_cndmask_b32_e64 v4, 1.0, 2.0, vcc_lo
	v_mul_f32_e32 v3, v3, v4
	v_add_f32_e32 v4, 1.0, v3
	v_add_f32_e32 v8, -1.0, v3
	v_rcp_f32_e32 v7, v4
	v_add_f32_e32 v10, -1.0, v4
	v_sub_f32_e32 v3, v3, v10
	v_mul_f32_e32 v9, v8, v7
	v_mul_f32_e32 v11, v4, v9
	v_fma_f32 v4, v9, v4, -v11
	v_fmac_f32_e32 v4, v9, v3
	v_add_f32_e32 v3, v11, v4
	v_sub_f32_e32 v10, v8, v3
	v_sub_f32_e32 v11, v3, v11
	;; [unrolled: 1-line block ×5, first 2 shown]
	v_add_f32_e32 v3, v4, v3
	v_add_f32_e32 v3, v10, v3
	v_mul_f32_e32 v3, v7, v3
	v_add_f32_e32 v7, v9, v3
	v_sub_f32_e32 v4, v7, v9
	v_mul_f32_e32 v8, v7, v7
	v_sub_f32_e32 v9, v3, v4
	v_fma_f32 v3, v7, v7, -v8
	v_add_f32_e32 v4, v9, v9
	v_fmac_f32_e32 v3, v7, v4
	v_add_f32_e32 v10, v8, v3
	v_fmaak_f32 v4, s0, v10, 0x3e91f4c4
	v_sub_f32_e32 v8, v10, v8
	v_mul_f32_e32 v15, v7, v10
	v_fmaak_f32 v4, v10, v4, 0x3ecccdef
	v_sub_f32_e32 v8, v3, v8
	v_fma_f32 v16, v10, v7, -v15
	v_mul_f32_e32 v11, v10, v4
	v_fmac_f32_e32 v16, v10, v9
	v_ldexp_f32 v9, v9, 1
	v_fma_f32 v12, v10, v4, -v11
	v_fmac_f32_e32 v16, v8, v7
	v_fmac_f32_e32 v12, v8, v4
	v_cvt_f64_f32_e64 v[3:4], |v6|
	v_add_f32_e32 v13, v11, v12
	v_sub_f32_e32 v11, v13, v11
	v_add_f32_e32 v14, 0x3f2aaaaa, v13
	v_sub_f32_e32 v11, v12, v11
	v_add_f32_e32 v12, 0xbf2aaaaa, v14
	v_add_f32_e32 v11, 0x31739010, v11
	v_sub_f32_e32 v12, v13, v12
	v_frexp_exp_i32_f64_e32 v3, v[3:4]
	v_add_f32_e32 v10, v11, v12
	v_add_f32_e32 v11, v15, v16
	v_add_f32_e32 v8, v14, v10
	v_sub_f32_e32 v13, v11, v15
	v_sub_f32_e32 v4, v14, v8
	v_mul_f32_e32 v12, v11, v8
	v_sub_f32_e32 v13, v16, v13
	v_add_f32_e32 v4, v10, v4
	v_fma_f32 v10, v11, v8, -v12
	v_subrev_co_ci_u32_e64 v3, null, 0, v3, vcc_lo
	v_fmac_f32_e32 v10, v11, v4
	v_ldexp_f32 v4, v7, 1
	v_cvt_f32_i32_e32 v3, v3
	v_fmac_f32_e32 v10, v13, v8
	v_add_f32_e32 v7, v12, v10
	v_add_f32_e32 v8, v4, v7
	v_sub_f32_e32 v11, v7, v12
	v_mul_f32_e32 v12, 0x3f317218, v3
	v_sub_f32_e32 v4, v8, v4
	v_sub_f32_e32 v10, v10, v11
	v_fma_f32 v11, 0x3f317218, v3, -v12
	v_sub_f32_e32 v4, v7, v4
	v_add_f32_e32 v7, v9, v10
	v_fmamk_f32 v3, v3, 0xb102e308, v11
	v_add_f32_e32 v4, v7, v4
	v_add_f32_e32 v7, v12, v3
	;; [unrolled: 1-line block ×3, first 2 shown]
	v_sub_f32_e32 v12, v7, v12
	v_add_f32_e32 v10, v7, v9
	v_sub_f32_e32 v8, v9, v8
	v_sub_f32_e32 v3, v3, v12
	;; [unrolled: 1-line block ×6, first 2 shown]
	v_add_f32_e32 v9, v3, v4
	v_sub_f32_e32 v7, v7, v13
	v_add_f32_e32 v7, v8, v7
	v_sub_f32_e32 v8, v9, v3
	;; [unrolled: 2-line block ×3, first 2 shown]
	v_sub_f32_e32 v4, v4, v8
	v_add_f32_e32 v11, v10, v7
	v_sub_f32_e32 v3, v3, v9
	v_sub_f32_e32 v8, v11, v10
	v_add_f32_e32 v3, v4, v3
	v_sub_f32_e32 v4, v7, v8
	v_add_f32_e32 v3, v3, v4
	v_add_f32_e32 v4, v11, v3
	v_sub_f32_e32 v7, v4, v11
	v_mul_f32_e32 v8, v5, v4
	v_sub_f32_e32 v3, v3, v7
	v_fma_f32 v4, v5, v4, -v8
	v_cmp_class_f32_e64 vcc_lo, v8, 0x204
	v_fmac_f32_e32 v4, v5, v3
	v_add_f32_e32 v3, v8, v4
	v_cndmask_b32_e32 v7, v3, v8, vcc_lo
	v_sub_f32_e32 v3, v3, v8
	v_cmp_eq_f32_e32 vcc_lo, 0x42b17218, v7
	v_sub_f32_e32 v3, v4, v3
	v_cndmask_b32_e64 v9, 0, 0x37000000, vcc_lo
	v_cmp_neq_f32_e64 vcc_lo, 0x7f800000, |v7|
	v_sub_f32_e32 v10, v7, v9
	v_cndmask_b32_e32 v3, 0, v3, vcc_lo
	v_trunc_f32_e32 v7, v5
	v_mul_f32_e32 v11, 0x3fb8aa3b, v10
	v_cmp_ngt_f32_e32 vcc_lo, 0xc2ce8ed0, v10
	v_add_f32_e32 v3, v9, v3
	v_fma_f32 v12, 0x3fb8aa3b, v10, -v11
	v_rndne_f32_e32 v13, v11
	v_fmamk_f32 v12, v10, 0x32a5705f, v12
	v_sub_f32_e32 v11, v11, v13
	v_cvt_i32_f32_e32 v8, v13
	v_add_f32_e32 v11, v11, v12
	v_exp_f32_e32 v11, v11
	v_ldexp_f32 v4, v11, v8
	v_mul_f32_e32 v8, 0.5, v5
	v_cndmask_b32_e32 v4, 0, v4, vcc_lo
	v_cmp_nlt_f32_e32 vcc_lo, 0x42b17218, v10
	v_trunc_f32_e32 v11, v8
	v_cndmask_b32_e32 v4, 0x7f800000, v4, vcc_lo
	v_cmp_eq_f32_e32 vcc_lo, v7, v5
	v_cmp_neq_f32_e64 s0, v11, v8
	v_fma_f32 v3, v4, v3, v4
	v_cmp_class_f32_e64 s1, v4, 0x204
	s_and_b32 s0, vcc_lo, s0
	v_cndmask_b32_e64 v7, 1.0, v6, s0
	v_cndmask_b32_e64 v3, v3, v4, s1
	v_cmp_gt_f32_e64 s1, 0, v5
	v_bfi_b32 v3, 0x7fffffff, v3, v7
	s_xor_b32 s1, s1, s2
	v_cndmask_b32_e64 v7, 0, v6, s0
	v_cndmask_b32_e64 v4, 0x7f800000, 0, s1
	v_cmp_class_f32_e64 s0, v6, 0x204
	v_cndmask_b32_e32 v5, 0x7fc00000, v3, vcc_lo
	v_cmp_gt_f32_e32 vcc_lo, 0, v6
	v_bfi_b32 v4, 0x7fffffff, v4, v7
	v_cndmask_b32_e32 v3, v3, v5, vcc_lo
	s_or_b32 vcc_lo, s2, s0
	v_cndmask_b32_e32 v3, v3, v4, vcc_lo
	v_cmp_o_f32_e32 vcc_lo, v6, v6
	v_cndmask_b32_e32 v36, 0x7fc00000, v3, vcc_lo
.LBB9_2:
	s_waitcnt lgkmcnt(0)
	s_load_dwordx2 s[0:1], s[4:5], 0x4
	s_load_dwordx16 s[12:27], s[6:7], 0x0
	v_mov_b32_e32 v6, 0
	v_lshlrev_b32_e32 v34, 2, v0
	s_lshl_b32 s30, s8, 1
	s_mov_b32 s4, exec_lo
	s_waitcnt lgkmcnt(0)
	v_mul_u32_u24_e32 v3, s1, v1
	s_lshr_b32 s0, s0, 16
	s_mul_i32 s0, s0, s1
	v_mad_u32_u24 v3, s0, v0, v3
	v_cmp_lt_u32_e64 s0, 1, v1
	v_add_lshl_u32 v11, v3, v2, 4
	v_add_nc_u32_e32 v2, 0x604, v11
	v_add_nc_u32_e32 v3, 0x400, v11
	ds_write2_b32 v2, v6, v6 offset1:1
	ds_write2_b32 v3, v6, v6 offset0:128 offset1:131
	v_cmpx_gt_u32_e32 2, v1
	s_cbranch_execz .LBB9_23
; %bb.3:
	v_lshlrev_b32_e32 v5, 7, v1
	v_or_b32_e32 v2, s30, v1
	s_mov_b32 s2, exec_lo
	v_cmp_gt_u32_e32 vcc_lo, 16, v0
	v_add_nc_u32_e32 v4, v5, v34
	v_cmpx_le_i32_e64 s36, v2
	s_xor_b32 s2, exec_lo, s2
	s_cbranch_execz .LBB9_9
; %bb.4:
	s_and_saveexec_b32 s1, vcc_lo
; %bb.5:
	v_mov_b32_e32 v2, 0
	ds_write_b32 v4, v2
; %bb.6:
	s_or_b32 exec_lo, exec_lo, s1
	s_mov_b32 s3, exec_lo
	v_cmpx_gt_u32_e32 2, v0
	s_cbranch_execz .LBB9_8
; %bb.7:
	v_mov_b32_e32 v2, 0
	v_add_nc_u32_e32 v4, v4, v34
	v_mov_b32_e32 v3, v2
	ds_write_b64 v4, v[2:3] offset:64
.LBB9_8:
	s_or_b32 exec_lo, exec_lo, s3
                                        ; implicit-def: $vgpr4
                                        ; implicit-def: $vgpr5
.LBB9_9:
	s_andn2_saveexec_b32 s1, s2
	s_cbranch_execz .LBB9_23
; %bb.10:
	s_load_dwordx4 s[44:47], s[6:7], 0x70
	v_lshlrev_b32_e32 v3, 2, v34
	s_waitcnt lgkmcnt(0)
	v_mul_lo_u32 v2, s44, v1
	s_mul_i32 s1, s33, s46
	s_mul_i32 s2, s44, s30
	;; [unrolled: 1-line block ×3, first 2 shown]
	s_add_i32 s1, s1, s2
	s_add_i32 s1, s1, s3
	s_ashr_i32 s2, s1, 31
	v_ashrrev_i32_e32 v7, 31, v2
	s_add_u32 s1, s12, s1
	s_addc_u32 s2, s13, s2
	v_add_co_u32 v2, s1, s1, v2
	v_add_co_ci_u32_e64 v8, null, s2, v7, s1
	v_mov_b32_e32 v7, 0
	v_add_co_u32 v2, s1, v2, v3
	v_add_co_ci_u32_e64 v3, null, 0, v8, s1
	v_mov_b32_e32 v8, 0
	s_and_saveexec_b32 s1, vcc_lo
	s_cbranch_execz .LBB9_12
; %bb.11:
	global_load_dword v8, v[2:3], off
	s_waitcnt vmcnt(0)
	v_mul_f32_e32 v8, s28, v8
.LBB9_12:
	s_or_b32 exec_lo, exec_lo, s1
	s_and_saveexec_b32 s1, vcc_lo
	s_cbranch_execz .LBB9_14
; %bb.13:
	global_load_dword v7, v[2:3], off offset:4
	s_waitcnt vmcnt(0)
	v_mul_f32_e32 v7, s28, v7
.LBB9_14:
	s_or_b32 exec_lo, exec_lo, s1
	v_mov_b32_e32 v9, 0
	v_mov_b32_e32 v10, 0
	s_and_saveexec_b32 s1, vcc_lo
	s_cbranch_execz .LBB9_16
; %bb.15:
	global_load_dword v10, v[2:3], off offset:8
	s_waitcnt vmcnt(0)
	v_mul_f32_e32 v10, s28, v10
.LBB9_16:
	s_or_b32 exec_lo, exec_lo, s1
	s_and_saveexec_b32 s1, vcc_lo
	s_cbranch_execz .LBB9_18
; %bb.17:
	global_load_dword v2, v[2:3], off offset:12
	s_waitcnt vmcnt(0)
	v_mul_f32_e32 v9, s28, v2
.LBB9_18:
	s_or_b32 exec_lo, exec_lo, s1
	v_mbcnt_lo_u32_b32 v2, -1, 0
	v_max_f32_e64 v3, |v7|, |v7|
	v_max_f32_e64 v12, |v8|, |v8|
	s_mov_b32 s5, exec_lo
	v_xor_b32_e32 v13, 4, v2
	v_xor_b32_e32 v14, 2, v2
	v_max_f32_e32 v3, v12, v3
	v_xor_b32_e32 v15, 1, v2
	v_cmp_gt_i32_e32 vcc_lo, 32, v13
	v_max3_f32 v3, v3, |v10|, |v9|
	v_cndmask_b32_e32 v12, v2, v13, vcc_lo
	v_cmp_gt_i32_e32 vcc_lo, 32, v14
	v_lshlrev_b32_e32 v12, 2, v12
	v_cndmask_b32_e32 v14, v2, v14, vcc_lo
	v_cmp_gt_i32_e32 vcc_lo, 32, v15
	ds_bpermute_b32 v13, v12, v3
	v_lshlrev_b32_e32 v14, 2, v14
	v_cndmask_b32_e32 v2, v2, v15, vcc_lo
	v_add_f32_e32 v15, v8, v7
	v_lshlrev_b32_e32 v2, 2, v2
	v_add_f32_e32 v15, v15, v10
	v_add_f32_e32 v15, v15, v9
	ds_bpermute_b32 v12, v12, v15
	s_waitcnt lgkmcnt(1)
	v_max_f32_e32 v13, v13, v13
	v_max_f32_e32 v3, v3, v13
	ds_bpermute_b32 v13, v14, v3
	s_waitcnt lgkmcnt(0)
	v_max_f32_e32 v13, v13, v13
	v_max_f32_e32 v3, v3, v13
	;; [unrolled: 4-line block ×3, first 2 shown]
	v_add_f32_e32 v3, v15, v12
	v_div_scale_f32 v16, null, 0x42fe0000, 0x42fe0000, v13
	ds_bpermute_b32 v14, v14, v3
	v_div_scale_f32 v15, vcc_lo, v13, 0x42fe0000, v13
	v_rcp_f32_e32 v17, v16
	v_fma_f32 v12, -v16, v17, 1.0
	v_fmac_f32_e32 v17, v12, v17
	s_waitcnt lgkmcnt(0)
	v_add_f32_e32 v3, v3, v14
	v_mul_f32_e32 v18, v15, v17
	v_fma_f32 v12, -v16, v18, v15
	v_fmac_f32_e32 v18, v12, v17
	ds_bpermute_b32 v12, v2, v3
	v_fma_f32 v2, -v16, v18, v15
	v_div_fmas_f32 v2, v2, v17, v18
	v_div_fixup_f32 v2, v2, 0x42fe0000, v13
	v_mov_b32_e32 v13, 0
	v_cmpx_neq_f32_e32 0, v2
	s_cbranch_execz .LBB9_20
; %bb.19:
	v_div_scale_f32 v13, null, v2, v2, v8
	v_div_scale_f32 v14, null, v2, v2, v7
	;; [unrolled: 1-line block ×3, first 2 shown]
	v_rcp_f32_e32 v15, v13
	v_div_scale_f32 v17, null, v2, v2, v9
	v_rcp_f32_e32 v18, v14
	v_rcp_f32_e32 v19, v16
	v_div_scale_f32 v23, vcc_lo, v8, v2, v8
	v_rcp_f32_e32 v20, v17
	v_fma_f32 v21, -v13, v15, 1.0
	v_fma_f32 v22, -v14, v18, 1.0
	;; [unrolled: 1-line block ×3, first 2 shown]
	v_fmac_f32_e32 v15, v21, v15
	v_div_scale_f32 v21, s1, v7, v2, v7
	v_fma_f32 v25, -v17, v20, 1.0
	v_fmac_f32_e32 v18, v22, v18
	v_fmac_f32_e32 v19, v24, v19
	v_div_scale_f32 v22, s2, v10, v2, v10
	v_fmac_f32_e32 v20, v25, v20
	v_mul_f32_e32 v25, v23, v15
	v_mul_f32_e32 v26, v21, v18
	;; [unrolled: 1-line block ×3, first 2 shown]
	v_div_scale_f32 v24, s3, v9, v2, v9
	v_fma_f32 v29, -v13, v25, v23
	v_fma_f32 v30, -v14, v26, v21
	;; [unrolled: 1-line block ×3, first 2 shown]
	v_mul_f32_e32 v28, v24, v20
	v_fmac_f32_e32 v25, v29, v15
	v_fmac_f32_e32 v26, v30, v18
	;; [unrolled: 1-line block ×3, first 2 shown]
	v_fma_f32 v32, -v17, v28, v24
	v_fma_f32 v13, -v13, v25, v23
	v_fma_f32 v14, -v14, v26, v21
	v_fma_f32 v16, -v16, v27, v22
	v_fmac_f32_e32 v28, v32, v20
	v_div_fmas_f32 v13, v13, v15, v25
	s_mov_b32 vcc_lo, s1
	v_div_fmas_f32 v14, v14, v18, v26
	s_mov_b32 vcc_lo, s2
	v_div_fixup_f32 v8, v13, v2, v8
	v_div_fmas_f32 v15, v16, v19, v27
	v_fma_f32 v16, -v17, v28, v24
	s_mov_b32 vcc_lo, s3
	v_div_fixup_f32 v7, v14, v2, v7
	v_div_fixup_f32 v10, v15, v2, v10
	v_div_fmas_f32 v15, v16, v20, v28
	v_trunc_f32_e32 v14, v7
	v_trunc_f32_e32 v16, v10
	v_div_fixup_f32 v9, v15, v2, v9
	v_trunc_f32_e32 v15, v8
	v_sub_f32_e32 v18, v7, v14
	v_sub_f32_e32 v13, v10, v16
	v_trunc_f32_e32 v17, v9
	v_sub_f32_e32 v20, v8, v15
	v_cmp_ge_f32_e64 s1, |v13|, 0.5
	v_sub_f32_e32 v19, v9, v17
	v_cndmask_b32_e64 v13, 0, 1.0, s1
	v_cmp_ge_f32_e64 s1, |v18|, 0.5
	v_bfi_b32 v10, 0x7fffffff, v13, v10
	v_cndmask_b32_e64 v13, 0, 1.0, s1
	v_cmp_ge_f32_e64 s1, |v19|, 0.5
	v_add_f32_e32 v10, v16, v10
	v_bfi_b32 v7, 0x7fffffff, v13, v7
	v_cndmask_b32_e64 v18, 0, 1.0, s1
	v_cmp_ge_f32_e64 s1, |v20|, 0.5
	v_mov_b32_e32 v13, 8
	v_cvt_i32_f32_e32 v10, v10
	v_add_f32_e32 v7, v14, v7
	v_bfi_b32 v9, 0x7fffffff, v18, v9
	v_cndmask_b32_e64 v16, 0, 1.0, s1
	v_and_b32_e32 v10, 0xff, v10
	v_cvt_i32_f32_e32 v7, v7
	v_add_f32_e32 v9, v17, v9
	v_bfi_b32 v8, 0x7fffffff, v16, v8
	v_lshlrev_b32_e32 v10, 16, v10
	v_lshlrev_b32_sdwa v7, v13, v7 dst_sel:DWORD dst_unused:UNUSED_PAD src0_sel:DWORD src1_sel:BYTE_0
	v_cvt_i32_f32_e32 v9, v9
	v_add_f32_e32 v8, v15, v8
	v_lshl_or_b32 v9, v9, 24, v10
	v_cvt_i32_f32_e32 v8, v8
	v_and_b32_e32 v8, 0xff, v8
	v_or3_b32 v13, v9, v7, v8
.LBB9_20:
	s_or_b32 exec_lo, exec_lo, s5
	v_and_b32_e32 v7, 0x77, v0
	s_mov_b32 s1, exec_lo
	ds_write_b32 v4, v13
	v_cmpx_eq_u32_e32 0, v7
	s_cbranch_execz .LBB9_22
; %bb.21:
	s_waitcnt lgkmcnt(1)
	v_add_f32_e32 v3, v3, v12
	v_add_nc_u32_e32 v4, v5, v0
	ds_write_b64 v4, v[2:3] offset:64
.LBB9_22:
	s_or_b32 exec_lo, exec_lo, s1
.LBB9_23:
	s_or_b32 exec_lo, exec_lo, s4
	s_waitcnt lgkmcnt(1)
	v_and_b32_e32 v12, 1, v0
	s_waitcnt lgkmcnt(0)
	s_barrier
	buffer_gl0_inv
	s_cmp_eq_u64 s[22:23], 0
	v_lshlrev_b32_e32 v10, 2, v12
	s_mov_b32 s31, s40
	ds_read2_b32 v[14:15], v10 offset1:2
	ds_read2_b32 v[16:17], v10 offset0:4 offset1:6
	ds_read2_b32 v[18:19], v10 offset0:8 offset1:10
	;; [unrolled: 1-line block ×4, first 2 shown]
	ds_read_b128 v[2:5], v6 offset:64
	ds_read_b128 v[6:9], v6 offset:192
	ds_read2_b32 v[24:25], v10 offset0:36 offset1:38
	ds_read2_b32 v[26:27], v10 offset0:40 offset1:42
	;; [unrolled: 1-line block ×3, first 2 shown]
	s_waitcnt lgkmcnt(0)
	s_barrier
	buffer_gl0_inv
	s_cbranch_scc1 .LBB9_25
; %bb.24:
	s_load_dword s1, s[6:7], 0xd0
	s_mov_b32 s3, 0
	s_waitcnt lgkmcnt(0)
	s_mul_i32 s1, s1, s33
	s_add_i32 s2, s1, s8
	s_lshl_b64 s[2:3], s[2:3], 2
	s_add_u32 s2, s22, s2
	s_addc_u32 s3, s23, s3
	s_load_dword s31, s[2:3], 0x0
.LBB9_25:
	v_lshlrev_b32_e32 v30, 5, v1
	v_add_nc_u32_e32 v35, 0x600, v11
	v_mbcnt_lo_u32_b32 v37, -1, 0
	s_lshl_b32 s2, s34, 7
	s_mov_b32 s3, 0
	v_add_nc_u32_e32 v32, v30, v0
	s_waitcnt lgkmcnt(0)
	s_cmp_ge_i32 s2, s31
	v_lshlrev_b32_e32 v33, 1, v32
	s_cbranch_scc1 .LBB9_37
; %bb.26:
	s_clause 0x1
	s_load_dwordx4 s[8:11], s[6:7], 0x98
	s_load_dwordx2 s[12:13], s[6:7], 0x8c
	s_sub_i32 s1, 0, s39
	s_sub_i32 s4, 0, s35
	s_mul_i32 s1, s1, s42
	s_abs_i32 s5, s38
	s_mul_hi_u32 s1, s42, s1
	s_mul_i32 s4, s4, s29
	s_add_i32 s42, s42, s1
	s_ashr_i32 s53, s33, 31
	s_mul_hi_u32 s1, s29, s4
	s_mul_hi_u32 s4, s5, s42
	s_ashr_i32 s28, s41, 31
	s_add_i32 s29, s29, s1
	s_mul_i32 s1, s4, s39
	s_ashr_i32 s23, s38, 31
	s_sub_i32 s1, s5, s1
	s_abs_i32 s22, s33
	s_xor_b32 s23, s23, s28
	s_add_i32 s28, s4, 1
	s_waitcnt lgkmcnt(0)
	s_mul_hi_u32 s41, s8, s33
	s_mul_i32 s42, s8, s53
	s_mul_i32 s9, s9, s33
	s_add_i32 s44, s41, s42
	s_sub_i32 s5, s1, s39
	s_add_i32 s44, s44, s9
	s_cmp_ge_u32 s1, s39
	v_and_b32_e32 v11, 0x7e, v0
	s_cselect_b32 s9, s28, s4
	s_cselect_b32 s1, s5, s1
	s_add_i32 s28, s9, 1
	s_cmp_ge_u32 s1, s39
	s_load_dwordx2 s[4:5], s[6:7], 0xc8
	s_cselect_b32 s1, s28, s9
	s_mul_hi_u32 s9, s22, s29
	s_xor_b32 s1, s1, s23
	s_mul_i32 s9, s9, s35
	s_sub_i32 s45, s1, s23
	s_sub_i32 s1, s22, s9
	s_mul_i32 s47, s45, s13
	s_mul_i32 s45, s45, s11
	s_ashr_i32 s48, s47, 31
	s_ashr_i32 s46, s45, 31
	s_sub_i32 s9, s1, s35
	s_cmp_ge_u32 s1, s35
	s_clause 0x1
	s_load_dword s22, s[6:7], 0xd4
	s_load_dwordx2 s[28:29], s[6:7], 0xa8
	s_cselect_b32 s1, s9, s1
	s_mul_i32 s11, s43, s30
	s_sub_i32 s9, s1, s35
	s_cmp_ge_u32 s1, s35
	v_add_nc_u32_e32 v11, v30, v11
	s_cselect_b32 s1, s9, s1
	s_mul_i32 s43, s8, s33
	s_xor_b32 s1, s1, s53
	v_lshrrev_b32_e32 v31, 4, v0
	s_sub_i32 s1, s1, s53
	v_add_nc_u32_e32 v38, s40, v11
	s_ashr_i32 s9, s1, 31
	s_waitcnt lgkmcnt(0)
	s_mul_hi_u32 s13, s4, s1
	s_mul_i32 s9, s4, s9
	s_mul_i32 s5, s5, s1
	s_add_i32 s41, s13, s9
	s_ashr_i32 s13, s11, 31
	s_add_i32 s41, s41, s5
	s_cmp_lg_u64 s[18:19], 0
	s_mul_i32 s42, s4, s1
	s_cselect_b32 s5, -1, 0
	s_lshl_b32 s4, s22, 7
	s_cmp_lt_i32 s30, s36
	v_bfe_u32 v40, v0, 3, 1
	s_cselect_b32 s1, -1, 0
	s_or_b32 s8, s30, 1
	s_and_b32 s35, s5, s1
	s_cmp_lt_i32 s8, s36
	v_ashrrev_i32_e32 v39, 31, v38
	s_cselect_b32 s8, -1, 0
	v_cmp_eq_u32_e64 s1, 0, v12
	s_and_b32 s39, s5, s8
	s_ashr_i32 s5, s40, 31
	s_add_u32 s49, s14, s47
	v_or_b32_e32 v13, v30, v31
	v_add_nc_u32_e32 v12, v30, v31
	s_addc_u32 s50, s15, s48
	v_lshlrev_b64 v[30:31], 1, v[38:39]
	v_mul_hi_u32_u24_e32 v39, 34, v40
	v_mul_u32_u24_e32 v38, 34, v40
	s_add_u32 s8, s49, s43
	s_addc_u32 s9, s50, s44
	s_lshl_b64 s[22:23], s[2:3], 1
	v_add_nc_u32_e32 v43, 30, v12
	s_add_u32 s51, s18, s22
	s_addc_u32 s52, s19, s23
	v_mad_u64_u32 v[38:39], null, s28, s33, v[38:39]
	s_add_u32 s51, s51, s42
	s_addc_u32 s52, s52, s41
	v_add_co_u32 v40, vcc_lo, s51, v30
	v_add_nc_u32_e32 v30, 28, v12
	v_add_co_ci_u32_e64 v41, null, s52, v31, vcc_lo
	v_mul_lo_u32 v31, s10, v43
	v_and_b32_e32 v42, 28, v34
	s_mul_i32 s29, s29, s33
	s_mul_i32 s28, s28, s53
	v_add_nc_u32_e32 v43, 26, v12
	v_add3_u32 v39, s28, s29, v39
	v_mul_lo_u32 v30, s10, v30
	v_add_co_u32 v42, vcc_lo, v38, v42
	v_add_nc_u32_e32 v44, 24, v12
	v_add_co_ci_u32_e64 v46, null, 0, v39, vcc_lo
	v_mul_lo_u32 v43, s10, v43
	v_ashrrev_i32_e32 v49, 31, v31
	v_add_nc_u32_e32 v45, 22, v12
	v_add_co_u32 v72, vcc_lo, v42, v31
	v_mul_lo_u32 v44, s10, v44
	v_ashrrev_i32_e32 v50, 31, v30
	v_add_co_ci_u32_e64 v73, null, v46, v49, vcc_lo
	v_add_co_u32 v74, vcc_lo, v38, v31
	v_add_nc_u32_e32 v47, 20, v12
	v_add_co_ci_u32_e64 v75, null, v39, v49, vcc_lo
	v_add_co_u32 v76, vcc_lo, v42, v30
	v_mul_lo_u32 v45, s10, v45
	v_ashrrev_i32_e32 v51, 31, v43
	v_add_co_ci_u32_e64 v77, null, v46, v50, vcc_lo
	v_add_co_u32 v78, vcc_lo, v38, v30
	v_add_nc_u32_e32 v48, 18, v12
	v_add_co_ci_u32_e64 v79, null, v39, v50, vcc_lo
	;; [unrolled: 7-line block ×4, first 2 shown]
	v_add_co_u32 v88, vcc_lo, v42, v45
	v_ashrrev_i32_e32 v56, 31, v47
	v_mul_lo_u32 v53, s10, v53
	v_add_co_ci_u32_e64 v89, null, v46, v54, vcc_lo
	v_add_co_u32 v90, vcc_lo, v38, v45
	v_add_nc_u32_e32 v57, 12, v12
	v_add_co_ci_u32_e64 v91, null, v39, v54, vcc_lo
	v_add_co_u32 v92, vcc_lo, v42, v47
	v_ashrrev_i32_e32 v58, 31, v48
	v_mul_lo_u32 v55, s10, v55
	v_add_co_ci_u32_e64 v93, null, v46, v56, vcc_lo
	v_add_co_u32 v94, vcc_lo, v38, v47
	v_add_nc_u32_e32 v59, 10, v12
	v_add_co_ci_u32_e64 v95, null, v39, v56, vcc_lo
	v_add_co_u32 v96, vcc_lo, v42, v48
	v_mul_lo_u32 v57, s10, v57
	v_ashrrev_i32_e32 v64, 31, v53
	v_add_co_ci_u32_e64 v97, null, v46, v58, vcc_lo
	v_add_co_u32 v98, vcc_lo, v38, v48
	v_add_nc_u32_e32 v60, 8, v12
	v_add_co_ci_u32_e64 v99, null, v39, v58, vcc_lo
	v_add_co_u32 v100, vcc_lo, v42, v53
	v_mul_lo_u32 v59, s10, v59
	v_ashrrev_i32_e32 v65, 31, v55
	;; [unrolled: 7-line block ×5, first 2 shown]
	v_add_co_ci_u32_e64 v113, null, v46, v67, vcc_lo
	v_add_co_u32 v114, vcc_lo, v38, v59
	v_add_co_ci_u32_e64 v115, null, v39, v67, vcc_lo
	v_add_co_u32 v116, vcc_lo, v42, v60
	v_mul_lo_u32 v63, s10, v63
	v_ashrrev_i32_e32 v69, 31, v61
	v_add_co_ci_u32_e64 v117, null, v46, v68, vcc_lo
	v_add_co_u32 v118, vcc_lo, v38, v60
	v_add_co_ci_u32_e64 v119, null, v39, v68, vcc_lo
	v_add_co_u32 v120, vcc_lo, v42, v61
	v_ashrrev_i32_e32 v70, 31, v62
	v_add_co_ci_u32_e64 v121, null, v46, v69, vcc_lo
	v_add_co_u32 v122, vcc_lo, v38, v61
	v_add_co_ci_u32_e64 v123, null, v39, v69, vcc_lo
	v_add_co_u32 v124, vcc_lo, v42, v62
	v_ashrrev_i32_e32 v71, 31, v63
	v_add_co_ci_u32_e64 v125, null, v46, v70, vcc_lo
	v_add_co_u32 v126, vcc_lo, v38, v62
	v_mul_lo_u32 v43, s10, v12
	v_add_co_ci_u32_e64 v127, null, v39, v70, vcc_lo
	v_add_co_u32 v128, vcc_lo, v42, v63
	v_add_co_ci_u32_e64 v129, null, v46, v71, vcc_lo
	v_add_co_u32 v130, vcc_lo, v38, v63
	;; [unrolled: 2-line block ×3, first 2 shown]
	v_add_co_ci_u32_e64 v44, null, s46, v46, vcc_lo
	v_ashrrev_i32_e32 v45, 31, v43
	v_and_b32_e32 v46, 30, v37
	v_add_co_u32 v38, vcc_lo, v38, s45
	v_add_co_u32 v30, s28, s40, v11
	v_add_co_ci_u32_e64 v39, null, s46, v39, vcc_lo
	v_add_co_u32 v132, vcc_lo, v42, v43
	v_add_co_ci_u32_e64 v31, null, s5, 0, s28
	v_add_co_ci_u32_e64 v133, null, v44, v45, vcc_lo
	v_add_nc_u32_e32 v42, 2, v46
	v_xor_b32_e32 v44, 1, v37
	v_add_co_u32 v38, vcc_lo, v38, v43
	v_lshlrev_b64 v[30:31], 1, v[30:31]
	v_add_co_ci_u32_e64 v39, null, v39, v45, vcc_lo
	v_cmp_lt_i32_e32 vcc_lo, v44, v42
	v_xor_b32_e32 v43, 2, v37
	v_mul_lo_u32 v53, v11, s12
	v_xor_b32_e32 v45, 8, v37
	v_xor_b32_e32 v46, 16, v37
	v_cndmask_b32_e32 v42, v37, v44, vcc_lo
	v_add_co_u32 v30, vcc_lo, s51, v30
	v_add_co_ci_u32_e64 v31, null, s52, v31, vcc_lo
	v_xor_b32_e32 v44, 4, v37
	v_cmp_gt_i32_e32 vcc_lo, 32, v43
	v_add_nc_u32_e32 v51, s12, v53
	s_mov_b32 s5, s3
	v_add_co_u32 v10, s3, s43, v10
	v_cndmask_b32_e32 v43, v37, v43, vcc_lo
	v_cmp_gt_i32_e32 vcc_lo, 32, v44
	v_ashrrev_i32_e32 v52, 31, v51
	v_add_co_ci_u32_e64 v54, null, s44, 0, s3
	v_lshlrev_b32_e32 v47, 1, v13
	v_cndmask_b32_e32 v44, v37, v44, vcc_lo
	v_cmp_gt_i32_e32 vcc_lo, 32, v45
	v_lshlrev_b32_e32 v48, 1, v12
	v_lshlrev_b32_e32 v42, 2, v42
	v_lshlrev_b32_e32 v43, 2, v43
	v_lshlrev_b32_e32 v44, 2, v44
	v_cndmask_b32_e32 v45, v37, v45, vcc_lo
	v_cmp_gt_i32_e32 vcc_lo, 32, v46
	s_mul_i32 s28, s10, s2
	s_mul_i32 s10, s4, s10
	v_lshlrev_b32_e32 v45, 2, v45
	v_cndmask_b32_e32 v46, v37, v46, vcc_lo
	v_add_co_u32 v13, vcc_lo, v10, v51
	v_add_co_ci_u32_e64 v50, null, v54, v52, vcc_lo
	v_lshlrev_b32_e32 v46, 2, v46
	v_add_co_u32 v49, vcc_lo, s49, v13
	v_add_co_ci_u32_e64 v50, null, s50, v50, vcc_lo
	v_add_co_u32 v10, vcc_lo, v10, s47
	v_add_co_ci_u32_e64 v12, null, s48, v54, vcc_lo
	v_add_co_u32 v51, vcc_lo, s8, v51
	v_ashrrev_i32_e32 v13, 31, v53
	v_add_co_ci_u32_e64 v52, null, s9, v52, vcc_lo
	s_lshl_b64 s[8:9], s[4:5], 1
	s_add_u32 s3, s43, s47
	s_addc_u32 s5, s44, s48
	v_add_co_u32 v10, vcc_lo, v10, v53
	s_add_u32 s3, s14, s3
	v_add_co_ci_u32_e64 v12, null, v12, v13, vcc_lo
	s_addc_u32 s5, s15, s5
	v_add_co_u32 v55, vcc_lo, s3, v53
	v_add_co_ci_u32_e64 v13, null, s5, v13, vcc_lo
	v_add_co_u32 v53, vcc_lo, s14, v10
	v_add_co_ci_u32_e64 v54, null, s15, v12, vcc_lo
	v_add_co_u32 v55, vcc_lo, v55, 18
	s_add_u32 s3, s16, s45
	v_add_co_ci_u32_e64 v56, null, 0, v13, vcc_lo
	s_addc_u32 s5, s17, s46
	v_add_co_u32 v57, vcc_lo, s3, v72
	v_add_co_ci_u32_e64 v58, null, s5, v73, vcc_lo
	v_add_co_u32 v59, vcc_lo, s3, v74
	v_add_co_ci_u32_e64 v60, null, s5, v75, vcc_lo
	;; [unrolled: 2-line block ×31, first 2 shown]
	v_add_co_u32 v119, vcc_lo, s16, v38
	v_lshlrev_b32_e32 v38, 1, v11
	ds_read_b128 v[10:13], v35
	s_add_u32 s3, s42, s22
	s_addc_u32 s5, s41, s23
	s_add_u32 s3, s18, s3
	s_addc_u32 s5, s19, s5
	v_add_co_u32 v38, s3, s3, v38
	v_add_co_ci_u32_e64 v120, null, s17, v39, vcc_lo
	v_add_co_ci_u32_e64 v39, null, s5, 0, s3
	v_add_co_u32 v121, vcc_lo, v30, 2
	v_add_co_ci_u32_e64 v122, null, 0, v31, vcc_lo
	v_add_co_u32 v123, vcc_lo, v38, 2
	v_add_co_ci_u32_e64 v124, null, 0, v39, vcc_lo
	v_mov_b32_e32 v38, 0
	v_mov_b32_e32 v128, 0xfeffffff
	;; [unrolled: 1-line block ×6, first 2 shown]
	s_mul_i32 s3, s12, s2
	s_mul_i32 s5, s4, s12
.LBB9_27:                               ; =>This Inner Loop Header: Depth=1
	v_add_co_u32 v30, vcc_lo, v55, s3
	v_add_co_ci_u32_e64 v31, null, 0, v56, vcc_lo
	v_add_co_u32 v130, vcc_lo, v53, s3
	v_add_co_ci_u32_e64 v131, null, 0, v54, vcc_lo
	v_mov_b32_e32 v139, 0
	s_and_b32 vcc_lo, exec_lo, s35
	global_load_dword v129, v[130:131], off offset:2
	global_load_ushort v135, v[30:31], off offset:-18
	s_clause 0x1
	global_load_dword v132, v[130:131], off offset:10
	global_load_dword v138, v[130:131], off offset:20
	s_waitcnt vmcnt(3)
	v_and_b32_e32 v137, 0xf0f0f0f, v129
	v_lshrrev_b32_e32 v129, 4, v129
	s_waitcnt vmcnt(1)
	v_and_b32_e32 v136, 0xf0f0f0f, v132
	v_and_b32_e32 v134, 0xf0f0f0f, v129
	v_lshrrev_b32_e32 v129, 4, v132
	s_waitcnt vmcnt(0)
	v_and_b32_e32 v132, 0xf0f0f0f, v138
	v_and_b32_e32 v133, 0xf0f0f0f, v129
	global_load_ushort v129, v[30:31], off
	global_load_dword v30, v[130:131], off offset:28
	v_lshrrev_b32_e32 v31, 4, v138
	v_mov_b32_e32 v138, 0
	v_dot4c_i32_i8 v139, v133, v17
	v_and_b32_e32 v130, 0xf0f0f0f, v31
	v_dot4c_i32_i8 v138, v136, v15
	v_cvt_f32_i32_e32 v139, v139
	v_cvt_f32_i32_e32 v138, v138
	v_fma_f32 v139, v2, v139, -v3
	v_fma_f32 v138, v2, v138, -v3
	s_waitcnt vmcnt(0)
	v_and_b32_e32 v131, 0xf0f0f0f, v30
	v_lshrrev_b32_e32 v30, 4, v30
	v_and_b32_e32 v31, 0xf0f0f0f, v30
	v_mov_b32_e32 v30, 0
	v_dot4c_i32_i8 v30, v137, v14
	v_cvt_f32_i32_e32 v30, v30
	v_fma_f32 v30, v2, v30, -v3
	v_fma_mix_f32 v30, v30, v135, 0 op_sel_hi:[0,1,0]
	v_fma_mix_f32 v30, v138, v135, v30 op_sel_hi:[0,1,0]
	v_mov_b32_e32 v138, 0
	v_dot4c_i32_i8 v138, v134, v16
	v_cvt_f32_i32_e32 v138, v138
	v_fma_f32 v138, v2, v138, -v3
	v_fma_mix_f32 v30, v138, v135, v30 op_sel_hi:[0,1,0]
	v_mov_b32_e32 v138, 0
	v_fma_mix_f32 v30, v139, v135, v30 op_sel_hi:[0,1,0]
	v_dot4c_i32_i8 v138, v132, v18
	v_mov_b32_e32 v139, 0
	v_cvt_f32_i32_e32 v138, v138
	v_dot4c_i32_i8 v139, v131, v19
	v_fma_f32 v138, v4, v138, -v5
	v_cvt_f32_i32_e32 v139, v139
	v_fma_mix_f32 v30, v138, v129, v30 op_sel_hi:[0,1,0]
	v_fma_f32 v139, v4, v139, -v5
	v_mov_b32_e32 v138, 0
	v_fma_mix_f32 v30, v139, v129, v30 op_sel_hi:[0,1,0]
	v_dot4c_i32_i8 v138, v130, v20
	v_mov_b32_e32 v139, 0
	v_cvt_f32_i32_e32 v138, v138
	v_dot4c_i32_i8 v139, v31, v21
	v_fma_f32 v138, v4, v138, -v5
	v_cvt_f32_i32_e32 v139, v139
	v_fma_mix_f32 v30, v138, v129, v30 op_sel_hi:[0,1,0]
	v_fma_f32 v139, v4, v139, -v5
	v_fma_mix_f32 v30, v139, v129, v30 op_sel_hi:[0,1,0]
	ds_bpermute_b32 v138, v42, v30
	s_waitcnt lgkmcnt(0)
	v_add_f32_e32 v30, v30, v138
	s_cbranch_vccz .LBB9_29
; %bb.28:                               ;   in Loop: Header=BB9_27 Depth=1
	v_add_co_u32 v138, vcc_lo, v123, s11
	v_add_co_ci_u32_e64 v139, null, s13, v124, vcc_lo
	global_load_ushort v138, v[138:139], off offset:-2
	s_waitcnt vmcnt(0)
	v_fma_mix_f32 v30, v36, v138, v30 op_sel_hi:[0,1,0]
.LBB9_29:                               ;   in Loop: Header=BB9_27 Depth=1
	v_mov_b32_e32 v138, 0
	v_mov_b32_e32 v139, 0
	v_cvt_f32_f16_e32 v135, v135
	v_cvt_f32_f16_e32 v129, v129
	s_andn2_b32 vcc_lo, exec_lo, s39
	v_dot4c_i32_i8 v138, v137, v22
	v_mov_b32_e32 v137, 0
	v_dot4c_i32_i8 v139, v136, v23
	v_cvt_f32_i32_e32 v136, v138
	v_mov_b32_e32 v138, 0
	v_dot4c_i32_i8 v137, v134, v24
	v_cvt_f32_i32_e32 v134, v139
	v_mov_b32_e32 v139, 0
	v_fma_f32 v136, v6, v136, -v7
	v_dot4c_i32_i8 v138, v133, v25
	v_cvt_f32_i32_e32 v133, v137
	v_fma_f32 v134, v6, v134, -v7
	v_mov_b32_e32 v137, 0
	v_fma_f32 v136, v136, v135, 0
	v_dot4c_i32_i8 v139, v132, v26
	v_cvt_f32_i32_e32 v132, v138
	v_fma_f32 v133, v6, v133, -v7
	v_dot4c_i32_i8 v137, v131, v27
	v_fmac_f32_e32 v136, v134, v135
	v_mov_b32_e32 v134, 0
	v_cvt_f32_i32_e32 v131, v139
	v_fma_f32 v132, v6, v132, -v7
	v_fmac_f32_e32 v136, v133, v135
	v_dot4c_i32_i8 v134, v130, v28
	v_cvt_f32_i32_e32 v130, v137
	v_fma_f32 v131, v8, v131, -v9
	v_fmac_f32_e32 v136, v132, v135
	v_mov_b32_e32 v132, 0
	v_cvt_f32_i32_e32 v133, v134
	v_fma_f32 v130, v8, v130, -v9
	v_fmac_f32_e32 v136, v131, v129
	v_dot4c_i32_i8 v132, v31, v29
	v_fma_f32 v31, v8, v133, -v9
	v_fmac_f32_e32 v136, v130, v129
	v_cvt_f32_i32_e32 v130, v132
	v_fmac_f32_e32 v136, v31, v129
	v_fma_f32 v31, v8, v130, -v9
	v_fmac_f32_e32 v136, v31, v129
	ds_bpermute_b32 v31, v42, v136
	s_waitcnt lgkmcnt(0)
	v_add_f32_e32 v31, v136, v31
	s_cbranch_vccnz .LBB9_31
; %bb.30:                               ;   in Loop: Header=BB9_27 Depth=1
	v_add_co_u32 v129, vcc_lo, v40, s11
	v_add_co_ci_u32_e64 v130, null, s13, v41, vcc_lo
	global_load_ushort v129, v[129:130], off
	s_waitcnt vmcnt(0)
	v_fma_mix_f32 v31, v36, v129, v31 op_sel_hi:[0,1,0]
.LBB9_31:                               ;   in Loop: Header=BB9_27 Depth=1
	v_add_co_u32 v129, vcc_lo, v51, s3
	v_add_co_ci_u32_e64 v130, null, 0, v52, vcc_lo
	v_add_co_u32 v131, vcc_lo, v49, s3
	v_add_co_ci_u32_e64 v132, null, 0, v50, vcc_lo
	v_mov_b32_e32 v140, 0
	v_mov_b32_e32 v141, 0
	s_andn2_b32 vcc_lo, exec_lo, s35
	global_load_dword v133, v[131:132], off offset:2
	global_load_ushort v136, v[129:130], off
	s_clause 0x1
	global_load_dword v134, v[131:132], off offset:10
	global_load_dword v139, v[131:132], off offset:20
	global_load_ushort v130, v[129:130], off offset:18
	global_load_dword v129, v[131:132], off offset:28
	s_waitcnt vmcnt(5)
	v_and_b32_e32 v138, 0xf0f0f0f, v133
	v_lshrrev_b32_e32 v133, 4, v133
	s_waitcnt vmcnt(3)
	v_and_b32_e32 v137, 0xf0f0f0f, v134
	s_waitcnt vmcnt(2)
	v_lshrrev_b32_e32 v131, 4, v139
	s_waitcnt vmcnt(0)
	v_and_b32_e32 v132, 0xf0f0f0f, v129
	v_lshrrev_b32_e32 v129, 4, v129
	v_and_b32_e32 v135, 0xf0f0f0f, v133
	v_lshrrev_b32_e32 v133, 4, v134
	v_dot4c_i32_i8 v140, v137, v15
	v_and_b32_e32 v131, 0xf0f0f0f, v131
	v_and_b32_e32 v129, 0xf0f0f0f, v129
	v_and_b32_e32 v134, 0xf0f0f0f, v133
	v_and_b32_e32 v133, 0xf0f0f0f, v139
	v_mov_b32_e32 v139, 0
	v_cvt_f32_i32_e32 v140, v140
	v_dot4c_i32_i8 v141, v134, v17
	v_dot4c_i32_i8 v139, v138, v14
	v_fma_f32 v140, v2, v140, -v3
	v_cvt_f32_i32_e32 v141, v141
	v_cvt_f32_i32_e32 v139, v139
	v_fma_f32 v141, v2, v141, -v3
	v_fma_f32 v139, v2, v139, -v3
	v_fma_mix_f32 v139, v139, v136, 0 op_sel_hi:[0,1,0]
	v_fma_mix_f32 v139, v140, v136, v139 op_sel_hi:[0,1,0]
	v_mov_b32_e32 v140, 0
	v_dot4c_i32_i8 v140, v135, v16
	v_cvt_f32_i32_e32 v140, v140
	v_fma_f32 v140, v2, v140, -v3
	v_fma_mix_f32 v139, v140, v136, v139 op_sel_hi:[0,1,0]
	v_mov_b32_e32 v140, 0
	v_fma_mix_f32 v139, v141, v136, v139 op_sel_hi:[0,1,0]
	v_dot4c_i32_i8 v140, v133, v18
	v_mov_b32_e32 v141, 0
	v_cvt_f32_i32_e32 v140, v140
	v_dot4c_i32_i8 v141, v132, v19
	v_fma_f32 v140, v4, v140, -v5
	v_cvt_f32_i32_e32 v141, v141
	v_fma_mix_f32 v139, v140, v130, v139 op_sel_hi:[0,1,0]
	v_fma_f32 v141, v4, v141, -v5
	v_mov_b32_e32 v140, 0
	v_fma_mix_f32 v139, v141, v130, v139 op_sel_hi:[0,1,0]
	v_dot4c_i32_i8 v140, v131, v20
	v_mov_b32_e32 v141, 0
	v_cvt_f32_i32_e32 v140, v140
	v_dot4c_i32_i8 v141, v129, v21
	v_fma_f32 v140, v4, v140, -v5
	v_cvt_f32_i32_e32 v141, v141
	v_fma_mix_f32 v139, v140, v130, v139 op_sel_hi:[0,1,0]
	v_fma_f32 v141, v4, v141, -v5
	v_fma_mix_f32 v139, v141, v130, v139 op_sel_hi:[0,1,0]
	ds_bpermute_b32 v140, v42, v139
	s_waitcnt lgkmcnt(0)
	v_add_f32_e32 v139, v139, v140
	s_cbranch_vccnz .LBB9_33
; %bb.32:                               ;   in Loop: Header=BB9_27 Depth=1
	v_add_co_u32 v140, vcc_lo, v123, s11
	v_add_co_ci_u32_e64 v141, null, s13, v124, vcc_lo
	global_load_ushort v140, v[140:141], off
	s_waitcnt vmcnt(0)
	v_fma_mix_f32 v139, v36, v140, v139 op_sel_hi:[0,1,0]
.LBB9_33:                               ;   in Loop: Header=BB9_27 Depth=1
	v_mov_b32_e32 v140, 0
	v_mov_b32_e32 v141, 0
	v_cvt_f32_f16_e32 v136, v136
	v_cvt_f32_f16_e32 v130, v130
	s_andn2_b32 vcc_lo, exec_lo, s39
	v_dot4c_i32_i8 v140, v138, v22
	v_mov_b32_e32 v138, 0
	v_dot4c_i32_i8 v141, v137, v23
	v_cvt_f32_i32_e32 v137, v140
	v_mov_b32_e32 v140, 0
	v_dot4c_i32_i8 v138, v135, v24
	v_cvt_f32_i32_e32 v135, v141
	v_mov_b32_e32 v141, 0
	v_fma_f32 v137, v6, v137, -v7
	v_dot4c_i32_i8 v140, v134, v25
	v_cvt_f32_i32_e32 v134, v138
	v_fma_f32 v135, v6, v135, -v7
	v_mov_b32_e32 v138, 0
	v_fma_f32 v137, v137, v136, 0
	v_dot4c_i32_i8 v141, v133, v26
	v_cvt_f32_i32_e32 v133, v140
	v_fma_f32 v134, v6, v134, -v7
	v_dot4c_i32_i8 v138, v132, v27
	v_fmac_f32_e32 v137, v135, v136
	v_mov_b32_e32 v135, 0
	v_cvt_f32_i32_e32 v132, v141
	v_fma_f32 v133, v6, v133, -v7
	v_fmac_f32_e32 v137, v134, v136
	v_dot4c_i32_i8 v135, v131, v28
	v_cvt_f32_i32_e32 v131, v138
	v_fma_f32 v132, v8, v132, -v9
	v_fmac_f32_e32 v137, v133, v136
	v_mov_b32_e32 v133, 0
	v_cvt_f32_i32_e32 v134, v135
	v_fma_f32 v131, v8, v131, -v9
	v_fmac_f32_e32 v137, v132, v130
	v_dot4c_i32_i8 v133, v129, v29
	v_fma_f32 v129, v8, v134, -v9
	v_fmac_f32_e32 v137, v131, v130
	v_cvt_f32_i32_e32 v131, v133
	v_fmac_f32_e32 v137, v129, v130
	v_fma_f32 v129, v8, v131, -v9
	v_fmac_f32_e32 v137, v129, v130
	ds_bpermute_b32 v129, v42, v137
	s_waitcnt lgkmcnt(0)
	v_add_f32_e32 v129, v137, v129
	s_cbranch_vccnz .LBB9_35
; %bb.34:                               ;   in Loop: Header=BB9_27 Depth=1
	v_add_co_u32 v130, vcc_lo, v121, s11
	v_add_co_ci_u32_e64 v131, null, s13, v122, vcc_lo
	global_load_ushort v130, v[130:131], off
	s_waitcnt vmcnt(0)
	v_fma_mix_f32 v129, v36, v130, v129 op_sel_hi:[0,1,0]
.LBB9_35:                               ;   in Loop: Header=BB9_27 Depth=1
	v_cndmask_b32_e64 v126, v126, v30, s1
	v_add_f32_e32 v30, 0x40051340, v30
	v_add_f32_e32 v130, 0x40051340, v139
	;; [unrolled: 1-line block ×3, first 2 shown]
	v_cndmask_b32_e64 v129, v129, v31, s1
	s_add_i32 s2, s2, s4
	v_max3_f32 v30, v128, v30, v130
	v_add_f32_e32 v130, 0x40051340, v31
	v_cndmask_b32_e64 v31, v139, v126, s1
	s_cmp_ge_i32 s2, s31
	ds_bpermute_b32 v126, v43, v30
	v_max3_f32 v130, v127, v130, v131
	s_waitcnt lgkmcnt(0)
	v_max_f32_e32 v126, v126, v126
	v_max_f32_e32 v30, v30, v126
	ds_bpermute_b32 v126, v44, v30
	s_waitcnt lgkmcnt(0)
	v_max_f32_e32 v126, v126, v126
	v_max_f32_e32 v30, v30, v126
	ds_bpermute_b32 v126, v45, v30
	;; [unrolled: 4-line block ×3, first 2 shown]
	s_waitcnt lgkmcnt(0)
	v_max_f32_e32 v126, v126, v126
	v_max_f32_e32 v30, v30, v126
	v_sub_f32_e32 v126, v128, v30
	v_sub_f32_e32 v31, v31, v30
	v_mul_f32_e32 v128, 0x3fb8aa3b, v126
	v_cmp_ngt_f32_e32 vcc_lo, 0xc2ce8ed0, v126
	v_fma_f32 v131, 0x3fb8aa3b, v126, -v128
	v_rndne_f32_e32 v132, v128
	v_fmac_f32_e32 v131, 0x32a5705f, v126
	v_sub_f32_e32 v128, v128, v132
	v_add_f32_e32 v128, v128, v131
	v_cvt_i32_f32_e32 v131, v132
	v_exp_f32_e32 v128, v128
	v_ldexp_f32 v128, v128, v131
	v_cndmask_b32_e32 v128, 0, v128, vcc_lo
	v_cmp_nlt_f32_e32 vcc_lo, 0x42b17218, v126
	v_mul_f32_e32 v126, 0x3fb8aa3b, v31
	v_cndmask_b32_e32 v128, 0x7f800000, v128, vcc_lo
	v_fma_f32 v131, 0x3fb8aa3b, v31, -v126
	v_rndne_f32_e32 v132, v126
	v_cmp_ngt_f32_e32 vcc_lo, 0xc2ce8ed0, v31
	v_fmac_f32_e32 v131, 0x32a5705f, v31
	v_sub_f32_e32 v126, v126, v132
	v_add_f32_e32 v126, v126, v131
	v_cvt_i32_f32_e32 v131, v132
	v_exp_f32_e32 v126, v126
	v_ldexp_f32 v126, v126, v131
	v_cndmask_b32_e32 v126, 0, v126, vcc_lo
	v_cmp_nlt_f32_e32 vcc_lo, 0x42b17218, v31
	v_cndmask_b32_e32 v126, 0x7f800000, v126, vcc_lo
	v_cvt_f16_f32_e32 v31, v126
	v_fma_f32 v38, v38, v128, v126
	ds_write_b16 v33, v31
	v_cvt_f16_f32_e32 v31, v128
	v_mul_u32_u24_sdwa v31, v31, v125 dst_sel:DWORD dst_unused:UNUSED_PAD src0_sel:WORD_0 src1_sel:DWORD
	v_pk_mul_f16 v132, v11, v31
	ds_bpermute_b32 v11, v43, v130
	v_pk_mul_f16 v10, v10, v31
	s_waitcnt lgkmcnt(0)
	v_max_f32_e32 v11, v11, v11
	v_max_f32_e32 v11, v130, v11
	ds_bpermute_b32 v31, v44, v11
	s_waitcnt lgkmcnt(0)
	v_max_f32_e32 v31, v31, v31
	v_max_f32_e32 v11, v11, v31
	ds_bpermute_b32 v31, v45, v11
	;; [unrolled: 4-line block ×3, first 2 shown]
	s_waitcnt lgkmcnt(0)
	v_max_f32_e32 v31, v31, v31
	v_max_f32_e32 v31, v11, v31
	v_sub_f32_e32 v11, v127, v31
	v_mul_f32_e32 v127, 0x3fb8aa3b, v11
	v_cmp_ngt_f32_e32 vcc_lo, 0xc2ce8ed0, v11
	v_fma_f32 v128, 0x3fb8aa3b, v11, -v127
	v_rndne_f32_e32 v130, v127
	v_fmac_f32_e32 v128, 0x32a5705f, v11
	v_sub_f32_e32 v127, v127, v130
	v_add_f32_e32 v127, v127, v128
	v_cvt_i32_f32_e32 v128, v130
	v_exp_f32_e32 v127, v127
	v_ldexp_f32 v127, v127, v128
	v_cndmask_b32_e32 v127, 0, v127, vcc_lo
	v_cmp_nlt_f32_e32 vcc_lo, 0x42b17218, v11
	v_cndmask_b32_e32 v11, 0x7f800000, v127, vcc_lo
	v_sub_f32_e32 v127, v129, v31
	v_mul_f32_e32 v128, 0x3fb8aa3b, v127
	v_cmp_ngt_f32_e32 vcc_lo, 0xc2ce8ed0, v127
	v_fma_f32 v129, 0x3fb8aa3b, v127, -v128
	v_rndne_f32_e32 v130, v128
	v_fmac_f32_e32 v129, 0x32a5705f, v127
	v_sub_f32_e32 v128, v128, v130
	v_add_f32_e32 v128, v128, v129
	v_cvt_i32_f32_e32 v129, v130
	v_exp_f32_e32 v128, v128
	v_ldexp_f32 v128, v128, v129
	v_cndmask_b32_e32 v128, 0, v128, vcc_lo
	v_cmp_nlt_f32_e32 vcc_lo, 0x42b17218, v127
	v_cndmask_b32_e32 v127, 0x7f800000, v128, vcc_lo
	v_fma_f32 v39, v39, v11, v127
	v_cvt_f16_f32_e32 v11, v11
	v_cvt_f16_f32_e32 v127, v127
	v_mul_u32_u24_sdwa v11, v11, v125 dst_sel:DWORD dst_unused:UNUSED_PAD src0_sel:WORD_0 src1_sel:DWORD
	ds_write_b16 v33, v127 offset:256
	v_pk_mul_f16 v130, v12, v11
	v_pk_mul_f16 v133, v13, v11
	ds_read_u16 v12, v47
	ds_read_u16 v131, v47 offset:16
	ds_read_u16 v127, v47 offset:32
	;; [unrolled: 1-line block ×3, first 2 shown]
	s_waitcnt lgkmcnt(3)
	v_mul_u32_u24_e32 v134, 0x10001, v12
	ds_read_u16 v12, v47 offset:256
	s_waitcnt lgkmcnt(3)
	v_mul_u32_u24_e32 v131, 0x10001, v131
	s_waitcnt lgkmcnt(2)
	v_mul_u32_u24_e32 v127, 0x10001, v127
	s_waitcnt lgkmcnt(1)
	v_mul_u32_u24_e32 v11, 0x10001, v11
	s_waitcnt lgkmcnt(0)
	v_mul_u32_u24_e32 v135, 0x10001, v12
	v_add_co_u32 v12, vcc_lo, v119, s28
	v_add_co_ci_u32_e64 v13, null, 0, v120, vcc_lo
	v_add_co_u32 v128, vcc_lo, v117, s28
	v_add_co_ci_u32_e64 v129, null, 0, v118, vcc_lo
	global_load_ushort v12, v[12:13], off
	global_load_dword v13, v[128:129], off offset:2
	s_waitcnt vmcnt(1)
	v_mul_u32_u24_e32 v12, 0x10001, v12
	s_waitcnt vmcnt(0)
	v_pk_lshrrev_b16 v128, 8, v13 op_sel:[1,0] op_sel_hi:[0,0]
	v_pk_lshrrev_b16 v13, 8, v13 op_sel:[1,1] op_sel_hi:[0,1]
	v_lshrrev_b32_e32 v129, 16, v128
	v_cvt_f16_i16_sdwa v128, sext(v128) dst_sel:DWORD dst_unused:UNUSED_PAD src0_sel:BYTE_0
	v_cvt_f16_i16_sdwa v129, sext(v129) dst_sel:DWORD dst_unused:UNUSED_PAD src0_sel:BYTE_0
	v_pack_b32_f16 v128, v128, v129
	v_lshrrev_b32_e32 v129, 16, v13
	v_cvt_f16_i16_sdwa v13, sext(v13) dst_sel:DWORD dst_unused:UNUSED_PAD src0_sel:BYTE_0
	v_pk_mul_f16 v128, v128, v12
	v_cvt_f16_i16_sdwa v129, sext(v129) dst_sel:DWORD dst_unused:UNUSED_PAD src0_sel:BYTE_0
	v_pk_fma_f16 v138, v128, v134, v10
	v_pack_b32_f16 v13, v13, v129
	v_pk_fma_f16 v139, v128, v135, v130
	v_pk_mul_f16 v12, v13, v12
	v_pk_fma_f16 v140, v12, v134, v132
	v_pk_fma_f16 v141, v12, v135, v133
	ds_read_u16 v134, v48 offset:4
	ds_read_u16 v142, v48 offset:8
	;; [unrolled: 1-line block ×12, first 2 shown]
	s_waitcnt lgkmcnt(11)
	v_mul_u32_u24_e32 v145, 0x10001, v134
	ds_read_u16 v134, v48 offset:260
	s_waitcnt lgkmcnt(11)
	v_mul_u32_u24_e32 v142, 0x10001, v142
	s_waitcnt lgkmcnt(3)
	v_mul_u32_u24_e32 v13, 0x10001, v13
	;; [unrolled: 2-line block ×3, first 2 shown]
	v_add_co_u32 v134, vcc_lo, v115, s28
	v_add_co_ci_u32_e64 v135, null, 0, v116, vcc_lo
	v_add_co_u32 v136, vcc_lo, v113, s28
	v_add_co_ci_u32_e64 v137, null, 0, v114, vcc_lo
	global_load_ushort v134, v[134:135], off
	global_load_dword v135, v[136:137], off offset:2
	s_waitcnt vmcnt(1)
	v_mul_u32_u24_e32 v134, 0x10001, v134
	s_waitcnt vmcnt(0)
	v_pk_lshrrev_b16 v136, 8, v135 op_sel:[1,0] op_sel_hi:[0,0]
	v_pk_lshrrev_b16 v135, 8, v135 op_sel:[1,1] op_sel_hi:[0,1]
	v_lshrrev_b32_e32 v137, 16, v136
	v_cvt_f16_i16_sdwa v136, sext(v136) dst_sel:DWORD dst_unused:UNUSED_PAD src0_sel:BYTE_0
	v_cvt_f16_i16_sdwa v137, sext(v137) dst_sel:DWORD dst_unused:UNUSED_PAD src0_sel:BYTE_0
	v_pack_b32_f16 v136, v136, v137
	v_lshrrev_b32_e32 v137, 16, v135
	v_cvt_f16_i16_sdwa v135, sext(v135) dst_sel:DWORD dst_unused:UNUSED_PAD src0_sel:BYTE_0
	v_pk_mul_f16 v136, v136, v134
	v_cvt_f16_i16_sdwa v137, sext(v137) dst_sel:DWORD dst_unused:UNUSED_PAD src0_sel:BYTE_0
	v_pk_fma_f16 v138, v136, v145, v138
	v_pack_b32_f16 v135, v135, v137
	v_pk_fma_f16 v139, v136, v146, v139
	v_pk_mul_f16 v134, v135, v134
	v_pk_fma_f16 v140, v134, v145, v140
	v_pk_fma_f16 v141, v134, v146, v141
	ds_read_u16 v134, v48 offset:264
	s_waitcnt lgkmcnt(0)
	v_mul_u32_u24_e32 v145, 0x10001, v134
	v_add_co_u32 v134, vcc_lo, v111, s28
	v_add_co_ci_u32_e64 v135, null, 0, v112, vcc_lo
	v_add_co_u32 v136, vcc_lo, v109, s28
	v_add_co_ci_u32_e64 v137, null, 0, v110, vcc_lo
	global_load_ushort v134, v[134:135], off
	global_load_dword v135, v[136:137], off offset:2
	s_waitcnt vmcnt(1)
	v_mul_u32_u24_e32 v134, 0x10001, v134
	s_waitcnt vmcnt(0)
	v_pk_lshrrev_b16 v136, 8, v135 op_sel:[1,0] op_sel_hi:[0,0]
	v_pk_lshrrev_b16 v135, 8, v135 op_sel:[1,1] op_sel_hi:[0,1]
	v_lshrrev_b32_e32 v137, 16, v136
	v_cvt_f16_i16_sdwa v136, sext(v136) dst_sel:DWORD dst_unused:UNUSED_PAD src0_sel:BYTE_0
	v_cvt_f16_i16_sdwa v137, sext(v137) dst_sel:DWORD dst_unused:UNUSED_PAD src0_sel:BYTE_0
	v_pack_b32_f16 v136, v136, v137
	v_lshrrev_b32_e32 v137, 16, v135
	v_cvt_f16_i16_sdwa v135, sext(v135) dst_sel:DWORD dst_unused:UNUSED_PAD src0_sel:BYTE_0
	v_pk_mul_f16 v136, v136, v134
	v_cvt_f16_i16_sdwa v137, sext(v137) dst_sel:DWORD dst_unused:UNUSED_PAD src0_sel:BYTE_0
	v_pk_fma_f16 v138, v136, v142, v138
	v_pack_b32_f16 v135, v135, v137
	v_pk_fma_f16 v139, v136, v145, v139
	v_pk_mul_f16 v134, v135, v134
	v_pk_fma_f16 v140, v134, v142, v140
	v_pk_fma_f16 v141, v134, v145, v141
	ds_read_u16 v134, v48 offset:268
	v_mul_u32_u24_e32 v142, 0x10001, v143
	s_waitcnt lgkmcnt(0)
	v_mul_u32_u24_e32 v143, 0x10001, v134
	v_add_co_u32 v134, vcc_lo, v107, s28
	v_add_co_ci_u32_e64 v135, null, 0, v108, vcc_lo
	v_add_co_u32 v136, vcc_lo, v105, s28
	v_add_co_ci_u32_e64 v137, null, 0, v106, vcc_lo
	global_load_ushort v134, v[134:135], off
	global_load_dword v135, v[136:137], off offset:2
	s_waitcnt vmcnt(1)
	v_mul_u32_u24_e32 v134, 0x10001, v134
	s_waitcnt vmcnt(0)
	v_pk_lshrrev_b16 v136, 8, v135 op_sel:[1,0] op_sel_hi:[0,0]
	v_pk_lshrrev_b16 v135, 8, v135 op_sel:[1,1] op_sel_hi:[0,1]
	v_lshrrev_b32_e32 v137, 16, v136
	v_cvt_f16_i16_sdwa v136, sext(v136) dst_sel:DWORD dst_unused:UNUSED_PAD src0_sel:BYTE_0
	v_cvt_f16_i16_sdwa v137, sext(v137) dst_sel:DWORD dst_unused:UNUSED_PAD src0_sel:BYTE_0
	v_pack_b32_f16 v136, v136, v137
	v_lshrrev_b32_e32 v137, 16, v135
	v_cvt_f16_i16_sdwa v135, sext(v135) dst_sel:DWORD dst_unused:UNUSED_PAD src0_sel:BYTE_0
	v_pk_mul_f16 v136, v136, v134
	v_cvt_f16_i16_sdwa v137, sext(v137) dst_sel:DWORD dst_unused:UNUSED_PAD src0_sel:BYTE_0
	v_pk_fma_f16 v138, v136, v142, v138
	v_pack_b32_f16 v135, v135, v137
	v_pk_fma_f16 v139, v136, v143, v139
	v_pk_mul_f16 v134, v135, v134
	v_pk_fma_f16 v140, v134, v142, v140
	v_pk_fma_f16 v141, v134, v143, v141
	ds_read_u16 v134, v47 offset:272
	s_waitcnt lgkmcnt(0)
	v_mul_u32_u24_e32 v142, 0x10001, v134
	v_add_co_u32 v134, vcc_lo, v103, s28
	v_add_co_ci_u32_e64 v135, null, 0, v104, vcc_lo
	v_add_co_u32 v136, vcc_lo, v101, s28
	v_add_co_ci_u32_e64 v137, null, 0, v102, vcc_lo
	global_load_ushort v134, v[134:135], off
	global_load_dword v135, v[136:137], off offset:2
	s_waitcnt vmcnt(1)
	v_mul_u32_u24_e32 v134, 0x10001, v134
	s_waitcnt vmcnt(0)
	v_pk_lshrrev_b16 v136, 8, v135 op_sel:[1,0] op_sel_hi:[0,0]
	v_pk_lshrrev_b16 v135, 8, v135 op_sel:[1,1] op_sel_hi:[0,1]
	v_lshrrev_b32_e32 v137, 16, v136
	v_cvt_f16_i16_sdwa v136, sext(v136) dst_sel:DWORD dst_unused:UNUSED_PAD src0_sel:BYTE_0
	v_cvt_f16_i16_sdwa v137, sext(v137) dst_sel:DWORD dst_unused:UNUSED_PAD src0_sel:BYTE_0
	v_pack_b32_f16 v136, v136, v137
	v_lshrrev_b32_e32 v137, 16, v135
	v_cvt_f16_i16_sdwa v135, sext(v135) dst_sel:DWORD dst_unused:UNUSED_PAD src0_sel:BYTE_0
	v_pk_mul_f16 v136, v136, v134
	v_cvt_f16_i16_sdwa v137, sext(v137) dst_sel:DWORD dst_unused:UNUSED_PAD src0_sel:BYTE_0
	v_pk_fma_f16 v138, v136, v131, v138
	v_pack_b32_f16 v135, v135, v137
	v_pk_fma_f16 v139, v136, v142, v139
	v_pk_mul_f16 v134, v135, v134
	v_pk_fma_f16 v131, v134, v131, v140
	v_pk_fma_f16 v140, v134, v142, v141
	ds_read_u16 v134, v48 offset:276
	v_mul_u32_u24_e32 v141, 0x10001, v144
	s_waitcnt lgkmcnt(0)
	v_mul_u32_u24_e32 v142, 0x10001, v134
	v_add_co_u32 v134, vcc_lo, v99, s28
	v_add_co_ci_u32_e64 v135, null, 0, v100, vcc_lo
	v_add_co_u32 v136, vcc_lo, v97, s28
	v_add_co_ci_u32_e64 v137, null, 0, v98, vcc_lo
	global_load_ushort v134, v[134:135], off
	global_load_dword v135, v[136:137], off offset:2
	s_waitcnt vmcnt(1)
	v_mul_u32_u24_e32 v134, 0x10001, v134
	s_waitcnt vmcnt(0)
	v_pk_lshrrev_b16 v136, 8, v135 op_sel:[1,0] op_sel_hi:[0,0]
	v_pk_lshrrev_b16 v135, 8, v135 op_sel:[1,1] op_sel_hi:[0,1]
	v_lshrrev_b32_e32 v137, 16, v136
	v_cvt_f16_i16_sdwa v136, sext(v136) dst_sel:DWORD dst_unused:UNUSED_PAD src0_sel:BYTE_0
	v_cvt_f16_i16_sdwa v137, sext(v137) dst_sel:DWORD dst_unused:UNUSED_PAD src0_sel:BYTE_0
	v_pack_b32_f16 v136, v136, v137
	v_lshrrev_b32_e32 v137, 16, v135
	v_cvt_f16_i16_sdwa v135, sext(v135) dst_sel:DWORD dst_unused:UNUSED_PAD src0_sel:BYTE_0
	v_pk_mul_f16 v136, v136, v134
	v_cvt_f16_i16_sdwa v137, sext(v137) dst_sel:DWORD dst_unused:UNUSED_PAD src0_sel:BYTE_0
	v_pack_b32_f16 v135, v135, v137
	v_pk_fma_f16 v137, v136, v141, v138
	v_pk_fma_f16 v138, v136, v142, v139
	v_pk_mul_f16 v134, v135, v134
	v_pk_fma_f16 v139, v134, v142, v140
	v_mul_u32_u24_e32 v140, 0x10001, v133
	ds_read_u16 v133, v48 offset:280
	v_pk_fma_f16 v131, v134, v141, v131
	s_waitcnt lgkmcnt(0)
	v_mul_u32_u24_e32 v141, 0x10001, v133
	v_add_co_u32 v133, vcc_lo, v95, s28
	v_add_co_ci_u32_e64 v134, null, 0, v96, vcc_lo
	v_add_co_u32 v135, vcc_lo, v93, s28
	v_add_co_ci_u32_e64 v136, null, 0, v94, vcc_lo
	global_load_ushort v133, v[133:134], off
	global_load_dword v134, v[135:136], off offset:2
	s_waitcnt vmcnt(1)
	v_mul_u32_u24_e32 v133, 0x10001, v133
	s_waitcnt vmcnt(0)
	v_pk_lshrrev_b16 v135, 8, v134 op_sel:[1,0] op_sel_hi:[0,0]
	v_pk_lshrrev_b16 v134, 8, v134 op_sel:[1,1] op_sel_hi:[0,1]
	v_lshrrev_b32_e32 v136, 16, v135
	v_cvt_f16_i16_sdwa v135, sext(v135) dst_sel:DWORD dst_unused:UNUSED_PAD src0_sel:BYTE_0
	v_cvt_f16_i16_sdwa v136, sext(v136) dst_sel:DWORD dst_unused:UNUSED_PAD src0_sel:BYTE_0
	v_pack_b32_f16 v135, v135, v136
	v_lshrrev_b32_e32 v136, 16, v134
	v_cvt_f16_i16_sdwa v134, sext(v134) dst_sel:DWORD dst_unused:UNUSED_PAD src0_sel:BYTE_0
	v_pk_mul_f16 v135, v135, v133
	v_cvt_f16_i16_sdwa v136, sext(v136) dst_sel:DWORD dst_unused:UNUSED_PAD src0_sel:BYTE_0
	v_pack_b32_f16 v134, v134, v136
	v_pk_fma_f16 v136, v135, v140, v137
	v_pk_fma_f16 v135, v135, v141, v138
	v_pk_mul_f16 v133, v134, v133
	v_pk_fma_f16 v137, v133, v140, v131
	ds_read_u16 v131, v48 offset:284
	v_pk_fma_f16 v138, v133, v141, v139
	v_mul_u32_u24_e32 v139, 0x10001, v132
	s_waitcnt lgkmcnt(0)
	v_mul_u32_u24_e32 v140, 0x10001, v131
	v_add_co_u32 v131, vcc_lo, v91, s28
	v_add_co_ci_u32_e64 v132, null, 0, v92, vcc_lo
	v_add_co_u32 v133, vcc_lo, v89, s28
	v_add_co_ci_u32_e64 v134, null, 0, v90, vcc_lo
	global_load_ushort v131, v[131:132], off
	global_load_dword v132, v[133:134], off offset:2
	s_waitcnt vmcnt(1)
	v_mul_u32_u24_e32 v131, 0x10001, v131
	s_waitcnt vmcnt(0)
	v_pk_lshrrev_b16 v133, 8, v132 op_sel:[1,0] op_sel_hi:[0,0]
	v_pk_lshrrev_b16 v132, 8, v132 op_sel:[1,1] op_sel_hi:[0,1]
	v_lshrrev_b32_e32 v134, 16, v133
	v_cvt_f16_i16_sdwa v133, sext(v133) dst_sel:DWORD dst_unused:UNUSED_PAD src0_sel:BYTE_0
	v_cvt_f16_i16_sdwa v134, sext(v134) dst_sel:DWORD dst_unused:UNUSED_PAD src0_sel:BYTE_0
	v_pack_b32_f16 v133, v133, v134
	v_lshrrev_b32_e32 v134, 16, v132
	v_cvt_f16_i16_sdwa v132, sext(v132) dst_sel:DWORD dst_unused:UNUSED_PAD src0_sel:BYTE_0
	v_pk_mul_f16 v133, v133, v131
	v_cvt_f16_i16_sdwa v134, sext(v134) dst_sel:DWORD dst_unused:UNUSED_PAD src0_sel:BYTE_0
	v_pk_fma_f16 v136, v133, v139, v136
	v_pack_b32_f16 v132, v132, v134
	v_pk_fma_f16 v135, v133, v140, v135
	v_pk_mul_f16 v131, v132, v131
	v_pk_fma_f16 v137, v131, v139, v137
	v_pk_fma_f16 v138, v131, v140, v138
	ds_read_u16 v131, v47 offset:288
	s_waitcnt lgkmcnt(0)
	v_mul_u32_u24_e32 v139, 0x10001, v131
	v_add_co_u32 v131, vcc_lo, v87, s28
	v_add_co_ci_u32_e64 v132, null, 0, v88, vcc_lo
	v_add_co_u32 v133, vcc_lo, v85, s28
	v_add_co_ci_u32_e64 v134, null, 0, v86, vcc_lo
	global_load_ushort v131, v[131:132], off
	global_load_dword v132, v[133:134], off offset:2
	s_waitcnt vmcnt(1)
	v_mul_u32_u24_e32 v131, 0x10001, v131
	s_waitcnt vmcnt(0)
	v_pk_lshrrev_b16 v133, 8, v132 op_sel:[1,0] op_sel_hi:[0,0]
	v_pk_lshrrev_b16 v132, 8, v132 op_sel:[1,1] op_sel_hi:[0,1]
	v_lshrrev_b32_e32 v134, 16, v133
	v_cvt_f16_i16_sdwa v133, sext(v133) dst_sel:DWORD dst_unused:UNUSED_PAD src0_sel:BYTE_0
	v_cvt_f16_i16_sdwa v134, sext(v134) dst_sel:DWORD dst_unused:UNUSED_PAD src0_sel:BYTE_0
	v_pack_b32_f16 v133, v133, v134
	v_lshrrev_b32_e32 v134, 16, v132
	v_cvt_f16_i16_sdwa v132, sext(v132) dst_sel:DWORD dst_unused:UNUSED_PAD src0_sel:BYTE_0
	v_pk_mul_f16 v133, v133, v131
	v_cvt_f16_i16_sdwa v134, sext(v134) dst_sel:DWORD dst_unused:UNUSED_PAD src0_sel:BYTE_0
	v_pk_fma_f16 v135, v133, v139, v135
	v_pack_b32_f16 v132, v132, v134
	v_pk_fma_f16 v134, v133, v127, v136
	v_pk_mul_f16 v131, v132, v131
	v_pk_fma_f16 v127, v131, v127, v137
	v_mul_u32_u24_e32 v137, 0x10001, v130
	ds_read_u16 v130, v48 offset:292
	v_pk_fma_f16 v136, v131, v139, v138
	s_waitcnt lgkmcnt(0)
	v_mul_u32_u24_e32 v138, 0x10001, v130
	v_add_co_u32 v130, vcc_lo, v83, s28
	v_add_co_ci_u32_e64 v131, null, 0, v84, vcc_lo
	v_add_co_u32 v132, vcc_lo, v81, s28
	v_add_co_ci_u32_e64 v133, null, 0, v82, vcc_lo
	global_load_ushort v130, v[130:131], off
	global_load_dword v131, v[132:133], off offset:2
	s_waitcnt vmcnt(1)
	v_mul_u32_u24_e32 v130, 0x10001, v130
	s_waitcnt vmcnt(0)
	v_pk_lshrrev_b16 v132, 8, v131 op_sel:[1,0] op_sel_hi:[0,0]
	v_pk_lshrrev_b16 v131, 8, v131 op_sel:[1,1] op_sel_hi:[0,1]
	v_lshrrev_b32_e32 v133, 16, v132
	v_cvt_f16_i16_sdwa v132, sext(v132) dst_sel:DWORD dst_unused:UNUSED_PAD src0_sel:BYTE_0
	v_cvt_f16_i16_sdwa v133, sext(v133) dst_sel:DWORD dst_unused:UNUSED_PAD src0_sel:BYTE_0
	v_pack_b32_f16 v132, v132, v133
	v_lshrrev_b32_e32 v133, 16, v131
	v_cvt_f16_i16_sdwa v131, sext(v131) dst_sel:DWORD dst_unused:UNUSED_PAD src0_sel:BYTE_0
	v_pk_mul_f16 v132, v132, v130
	v_cvt_f16_i16_sdwa v133, sext(v133) dst_sel:DWORD dst_unused:UNUSED_PAD src0_sel:BYTE_0
	v_pack_b32_f16 v131, v131, v133
	v_pk_fma_f16 v133, v132, v137, v134
	v_pk_fma_f16 v134, v132, v138, v135
	v_pk_mul_f16 v130, v131, v130
	v_pk_fma_f16 v135, v130, v138, v136
	v_mul_u32_u24_e32 v136, 0x10001, v129
	ds_read_u16 v129, v48 offset:296
	v_pk_fma_f16 v127, v130, v137, v127
	s_waitcnt lgkmcnt(0)
	v_mul_u32_u24_e32 v137, 0x10001, v129
	v_add_co_u32 v129, vcc_lo, v79, s28
	v_add_co_ci_u32_e64 v130, null, 0, v80, vcc_lo
	v_add_co_u32 v131, vcc_lo, v77, s28
	v_add_co_ci_u32_e64 v132, null, 0, v78, vcc_lo
	global_load_ushort v129, v[129:130], off
	global_load_dword v130, v[131:132], off offset:2
	s_waitcnt vmcnt(1)
	v_mul_u32_u24_e32 v129, 0x10001, v129
	s_waitcnt vmcnt(0)
	v_pk_lshrrev_b16 v131, 8, v130 op_sel:[1,0] op_sel_hi:[0,0]
	v_pk_lshrrev_b16 v130, 8, v130 op_sel:[1,1] op_sel_hi:[0,1]
	v_lshrrev_b32_e32 v132, 16, v131
	v_cvt_f16_i16_sdwa v131, sext(v131) dst_sel:DWORD dst_unused:UNUSED_PAD src0_sel:BYTE_0
	v_cvt_f16_i16_sdwa v132, sext(v132) dst_sel:DWORD dst_unused:UNUSED_PAD src0_sel:BYTE_0
	v_pack_b32_f16 v131, v131, v132
	v_lshrrev_b32_e32 v132, 16, v130
	v_cvt_f16_i16_sdwa v130, sext(v130) dst_sel:DWORD dst_unused:UNUSED_PAD src0_sel:BYTE_0
	v_pk_mul_f16 v131, v131, v129
	v_cvt_f16_i16_sdwa v132, sext(v132) dst_sel:DWORD dst_unused:UNUSED_PAD src0_sel:BYTE_0
	v_pack_b32_f16 v130, v130, v132
	v_pk_fma_f16 v132, v131, v136, v133
	v_pk_fma_f16 v131, v131, v137, v134
	v_pk_mul_f16 v129, v130, v129
	v_pk_fma_f16 v133, v129, v136, v127
	ds_read_u16 v127, v48 offset:300
	v_pk_fma_f16 v134, v129, v137, v135
	v_mul_u32_u24_e32 v135, 0x10001, v128
	s_waitcnt lgkmcnt(0)
	v_mul_u32_u24_e32 v136, 0x10001, v127
	v_add_co_u32 v127, vcc_lo, v75, s28
	v_add_co_ci_u32_e64 v128, null, 0, v76, vcc_lo
	v_add_co_u32 v129, vcc_lo, v73, s28
	v_add_co_ci_u32_e64 v130, null, 0, v74, vcc_lo
	global_load_ushort v127, v[127:128], off
	global_load_dword v128, v[129:130], off offset:2
	s_waitcnt vmcnt(1)
	v_mul_u32_u24_e32 v127, 0x10001, v127
	s_waitcnt vmcnt(0)
	v_pk_lshrrev_b16 v129, 8, v128 op_sel:[1,0] op_sel_hi:[0,0]
	v_pk_lshrrev_b16 v128, 8, v128 op_sel:[1,1] op_sel_hi:[0,1]
	v_lshrrev_b32_e32 v130, 16, v129
	v_cvt_f16_i16_sdwa v129, sext(v129) dst_sel:DWORD dst_unused:UNUSED_PAD src0_sel:BYTE_0
	v_cvt_f16_i16_sdwa v130, sext(v130) dst_sel:DWORD dst_unused:UNUSED_PAD src0_sel:BYTE_0
	v_pack_b32_f16 v129, v129, v130
	v_lshrrev_b32_e32 v130, 16, v128
	v_cvt_f16_i16_sdwa v128, sext(v128) dst_sel:DWORD dst_unused:UNUSED_PAD src0_sel:BYTE_0
	v_pk_mul_f16 v129, v129, v127
	v_cvt_f16_i16_sdwa v130, sext(v130) dst_sel:DWORD dst_unused:UNUSED_PAD src0_sel:BYTE_0
	v_pk_fma_f16 v132, v129, v135, v132
	v_pack_b32_f16 v128, v128, v130
	v_pk_fma_f16 v131, v129, v136, v131
	v_pk_mul_f16 v127, v128, v127
	v_pk_fma_f16 v133, v127, v135, v133
	v_pk_fma_f16 v134, v127, v136, v134
	ds_read_u16 v127, v47 offset:304
	s_waitcnt lgkmcnt(0)
	v_mul_u32_u24_e32 v135, 0x10001, v127
	v_add_co_u32 v127, vcc_lo, v71, s28
	v_add_co_ci_u32_e64 v128, null, 0, v72, vcc_lo
	v_add_co_u32 v129, vcc_lo, v69, s28
	v_add_co_ci_u32_e64 v130, null, 0, v70, vcc_lo
	global_load_ushort v127, v[127:128], off
	global_load_dword v128, v[129:130], off offset:2
	s_waitcnt vmcnt(1)
	v_mul_u32_u24_e32 v127, 0x10001, v127
	s_waitcnt vmcnt(0)
	v_pk_lshrrev_b16 v129, 8, v128 op_sel:[1,0] op_sel_hi:[0,0]
	v_pk_lshrrev_b16 v128, 8, v128 op_sel:[1,1] op_sel_hi:[0,1]
	v_lshrrev_b32_e32 v130, 16, v129
	v_cvt_f16_i16_sdwa v129, sext(v129) dst_sel:DWORD dst_unused:UNUSED_PAD src0_sel:BYTE_0
	v_cvt_f16_i16_sdwa v130, sext(v130) dst_sel:DWORD dst_unused:UNUSED_PAD src0_sel:BYTE_0
	v_pack_b32_f16 v129, v129, v130
	v_lshrrev_b32_e32 v130, 16, v128
	v_cvt_f16_i16_sdwa v128, sext(v128) dst_sel:DWORD dst_unused:UNUSED_PAD src0_sel:BYTE_0
	v_pk_mul_f16 v129, v129, v127
	v_cvt_f16_i16_sdwa v130, sext(v130) dst_sel:DWORD dst_unused:UNUSED_PAD src0_sel:BYTE_0
	v_pk_fma_f16 v132, v129, v11, v132
	v_pack_b32_f16 v128, v128, v130
	v_pk_fma_f16 v131, v129, v135, v131
	v_pk_mul_f16 v127, v128, v127
	v_pk_fma_f16 v11, v127, v11, v133
	v_pk_fma_f16 v133, v127, v135, v134
	ds_read_u16 v127, v48 offset:308
	s_waitcnt lgkmcnt(0)
	v_mul_u32_u24_e32 v134, 0x10001, v127
	v_add_co_u32 v127, vcc_lo, v67, s28
	v_add_co_ci_u32_e64 v128, null, 0, v68, vcc_lo
	v_add_co_u32 v129, vcc_lo, v65, s28
	v_add_co_ci_u32_e64 v130, null, 0, v66, vcc_lo
	global_load_ushort v127, v[127:128], off
	global_load_dword v128, v[129:130], off offset:2
	s_waitcnt vmcnt(1)
	v_mul_u32_u24_e32 v127, 0x10001, v127
	s_waitcnt vmcnt(0)
	v_pk_lshrrev_b16 v129, 8, v128 op_sel:[1,0] op_sel_hi:[0,0]
	v_pk_lshrrev_b16 v128, 8, v128 op_sel:[1,1] op_sel_hi:[0,1]
	v_lshrrev_b32_e32 v130, 16, v129
	v_cvt_f16_i16_sdwa v129, sext(v129) dst_sel:DWORD dst_unused:UNUSED_PAD src0_sel:BYTE_0
	v_cvt_f16_i16_sdwa v130, sext(v130) dst_sel:DWORD dst_unused:UNUSED_PAD src0_sel:BYTE_0
	v_pack_b32_f16 v129, v129, v130
	v_lshrrev_b32_e32 v130, 16, v128
	v_cvt_f16_i16_sdwa v128, sext(v128) dst_sel:DWORD dst_unused:UNUSED_PAD src0_sel:BYTE_0
	v_pk_mul_f16 v129, v129, v127
	v_cvt_f16_i16_sdwa v130, sext(v130) dst_sel:DWORD dst_unused:UNUSED_PAD src0_sel:BYTE_0
	v_pack_b32_f16 v128, v128, v130
	v_pk_fma_f16 v130, v129, v13, v132
	v_pk_fma_f16 v129, v129, v134, v131
	v_mul_u32_u24_e32 v132, 0x10001, v12
	v_pk_mul_f16 v127, v128, v127
	v_pk_fma_f16 v13, v127, v13, v11
	ds_read_u16 v11, v48 offset:312
	v_pk_fma_f16 v131, v127, v134, v133
	s_waitcnt lgkmcnt(0)
	v_mul_u32_u24_e32 v133, 0x10001, v11
	v_add_co_u32 v11, vcc_lo, v63, s28
	v_add_co_ci_u32_e64 v12, null, 0, v64, vcc_lo
	v_add_co_u32 v127, vcc_lo, v61, s28
	v_add_co_ci_u32_e64 v128, null, 0, v62, vcc_lo
	global_load_ushort v11, v[11:12], off
	global_load_dword v12, v[127:128], off offset:2
	s_waitcnt vmcnt(1)
	v_mul_u32_u24_e32 v11, 0x10001, v11
	s_waitcnt vmcnt(0)
	v_pk_lshrrev_b16 v127, 8, v12 op_sel:[1,0] op_sel_hi:[0,0]
	v_pk_lshrrev_b16 v12, 8, v12 op_sel:[1,1] op_sel_hi:[0,1]
	v_lshrrev_b32_e32 v128, 16, v127
	v_cvt_f16_i16_sdwa v127, sext(v127) dst_sel:DWORD dst_unused:UNUSED_PAD src0_sel:BYTE_0
	v_cvt_f16_i16_sdwa v128, sext(v128) dst_sel:DWORD dst_unused:UNUSED_PAD src0_sel:BYTE_0
	v_pack_b32_f16 v127, v127, v128
	v_lshrrev_b32_e32 v128, 16, v12
	v_cvt_f16_i16_sdwa v12, sext(v12) dst_sel:DWORD dst_unused:UNUSED_PAD src0_sel:BYTE_0
	v_pk_mul_f16 v127, v127, v11
	v_cvt_f16_i16_sdwa v128, sext(v128) dst_sel:DWORD dst_unused:UNUSED_PAD src0_sel:BYTE_0
	v_pack_b32_f16 v12, v12, v128
	v_pk_mul_f16 v128, v12, v11
	v_pk_fma_f16 v11, v127, v132, v130
	v_pk_fma_f16 v12, v127, v133, v129
	v_add_co_u32 v130, vcc_lo, v59, s28
	v_pk_fma_f16 v13, v128, v132, v13
	v_pk_fma_f16 v127, v128, v133, v131
	v_mul_u32_u24_e32 v128, 0x10001, v10
	ds_read_u16 v10, v48 offset:316
	v_add_co_ci_u32_e64 v131, null, 0, v60, vcc_lo
	v_add_co_u32 v132, vcc_lo, v57, s28
	v_add_co_ci_u32_e64 v133, null, 0, v58, vcc_lo
	v_add_co_u32 v49, vcc_lo, v49, s5
	v_add_co_ci_u32_e64 v50, null, 0, v50, vcc_lo
	v_add_co_u32 v51, vcc_lo, v51, s5
	v_add_co_ci_u32_e64 v52, null, 0, v52, vcc_lo
	v_add_co_u32 v53, vcc_lo, v53, s5
	v_add_co_ci_u32_e64 v54, null, 0, v54, vcc_lo
	v_add_co_u32 v40, vcc_lo, v40, s8
	s_waitcnt lgkmcnt(0)
	v_mul_u32_u24_e32 v129, 0x10001, v10
	global_load_ushort v10, v[130:131], off
	global_load_dword v130, v[132:133], off offset:2
	v_add_co_ci_u32_e64 v41, null, s9, v41, vcc_lo
	v_add_co_u32 v55, vcc_lo, v55, s5
	v_add_co_ci_u32_e64 v56, null, 0, v56, vcc_lo
	v_add_co_u32 v57, vcc_lo, v57, s10
	;; [unrolled: 2-line block ×35, first 2 shown]
	v_add_co_ci_u32_e64 v124, null, s9, v124, vcc_lo
	s_waitcnt vmcnt(1)
	v_mul_u32_u24_e32 v10, 0x10001, v10
	s_waitcnt vmcnt(0)
	v_pk_lshrrev_b16 v131, 8, v130 op_sel:[1,0] op_sel_hi:[0,0]
	v_pk_lshrrev_b16 v130, 8, v130 op_sel:[1,1] op_sel_hi:[0,1]
	v_lshrrev_b32_e32 v132, 16, v131
	v_cvt_f16_i16_sdwa v131, sext(v131) dst_sel:DWORD dst_unused:UNUSED_PAD src0_sel:BYTE_0
	v_cvt_f16_i16_sdwa v132, sext(v132) dst_sel:DWORD dst_unused:UNUSED_PAD src0_sel:BYTE_0
	v_pack_b32_f16 v131, v131, v132
	v_lshrrev_b32_e32 v132, 16, v130
	v_cvt_f16_i16_sdwa v130, sext(v130) dst_sel:DWORD dst_unused:UNUSED_PAD src0_sel:BYTE_0
	v_pk_mul_f16 v131, v131, v10
	v_cvt_f16_i16_sdwa v132, sext(v132) dst_sel:DWORD dst_unused:UNUSED_PAD src0_sel:BYTE_0
	v_pk_fma_f16 v12, v131, v129, v12
	v_pack_b32_f16 v130, v130, v132
	v_pk_mul_f16 v130, v130, v10
	v_pk_fma_f16 v10, v131, v128, v11
	v_pk_fma_f16 v11, v130, v128, v13
	;; [unrolled: 1-line block ×3, first 2 shown]
	s_cbranch_scc1 .LBB9_38
; %bb.36:                               ;   in Loop: Header=BB9_27 Depth=1
	v_mov_b32_e32 v128, v30
	v_mov_b32_e32 v127, v31
	s_branch .LBB9_27
.LBB9_37:
	v_mov_b32_e32 v30, 0xfeffffff
	v_mov_b32_e32 v38, 0
	;; [unrolled: 1-line block ×4, first 2 shown]
	s_branch .LBB9_39
.LBB9_38:
	ds_write_b128 v35, v[10:13]
.LBB9_39:
	s_cmp_eq_u64 s[20:21], 0
	s_cselect_b32 s1, -1, 0
	s_cmp_lg_u32 s34, 0
	s_cselect_b32 s2, -1, 0
	s_or_b32 s1, s2, s1
	s_nor_b32 s0, s1, s0
	s_and_saveexec_b32 s1, s0
	s_cbranch_execz .LBB9_41
; %bb.40:
	s_ashr_i32 s39, s38, 31
	v_cmp_eq_u32_e32 vcc_lo, 1, v1
	s_lshl_b64 s[2:3], s[38:39], 2
	s_add_u32 s2, s20, s2
	s_addc_u32 s3, s21, s3
	v_cndmask_b32_e32 v2, v30, v31, vcc_lo
	s_load_dword s0, s[2:3], 0x0
	v_max_f32_e32 v3, v2, v2
	s_waitcnt lgkmcnt(0)
	v_max_f32_e64 v4, s0, s0
	v_max_f32_e32 v4, v4, v3
	v_sub_f32_e32 v5, s0, v4
	v_sub_f32_e32 v6, v2, v4
	v_cndmask_b32_e32 v31, v31, v4, vcc_lo
	v_mul_f32_e32 v2, 0x3fb8aa3b, v5
	v_mul_f32_e32 v3, 0x3fb8aa3b, v6
	v_cmp_ngt_f32_e64 s0, 0xc2ce8ed0, v5
	v_fma_f32 v7, 0x3fb8aa3b, v5, -v2
	v_rndne_f32_e32 v8, v2
	v_fma_f32 v9, 0x3fb8aa3b, v6, -v3
	v_rndne_f32_e32 v10, v3
	v_fmac_f32_e32 v7, 0x32a5705f, v5
	v_sub_f32_e32 v2, v2, v8
	v_fmac_f32_e32 v9, 0x32a5705f, v6
	v_sub_f32_e32 v3, v3, v10
	v_add_f32_e32 v2, v2, v7
	v_cvt_i32_f32_e32 v7, v8
	v_add_f32_e32 v3, v3, v9
	v_cvt_i32_f32_e32 v8, v10
	v_lshl_add_u32 v9, v1, 3, v35
	v_exp_f32_e32 v2, v2
	v_exp_f32_e32 v3, v3
	v_ldexp_f32 v7, v2, v7
	v_ldexp_f32 v8, v3, v8
	ds_read_b64 v[2:3], v9
	v_cndmask_b32_e64 v7, 0, v7, s0
	v_cmp_ngt_f32_e64 s0, 0xc2ce8ed0, v6
	v_cndmask_b32_e64 v8, 0, v8, s0
	v_cmp_nlt_f32_e64 s0, 0x42b17218, v5
	v_cndmask_b32_e64 v5, 0x7f800000, v7, s0
	v_cmp_nlt_f32_e64 s0, 0x42b17218, v6
	v_mov_b32_e32 v7, 0x10001
	v_cndmask_b32_e64 v6, 0x7f800000, v8, s0
	v_cmp_eq_u32_e64 s0, 0, v0
	v_cndmask_b32_e32 v8, v38, v39, vcc_lo
	v_cvt_f16_f32_e32 v10, v6
	v_cndmask_b32_e64 v5, 0, v5, s0
	v_cmp_eq_u32_e64 s0, 0, v1
	v_fmac_f32_e32 v5, v8, v6
	v_mul_u32_u24_sdwa v6, v10, v7 dst_sel:DWORD dst_unused:UNUSED_PAD src0_sel:WORD_0 src1_sel:DWORD
	v_cndmask_b32_e64 v30, v30, v4, s0
	v_cndmask_b32_e32 v39, v39, v5, vcc_lo
	s_waitcnt lgkmcnt(0)
	v_pk_mul_f16 v2, v2, v6
	v_pk_mul_f16 v3, v3, v6
	v_cndmask_b32_e64 v38, v38, v5, s0
	ds_write_b64 v9, v[2:3]
.LBB9_41:
	s_or_b32 exec_lo, exec_lo, s1
	v_add_nc_u32_e32 v4, 0x500, v34
	v_or_b32_e32 v10, 0x400, v34
	s_mov_b32 s0, exec_lo
	v_cmpx_eq_u32_e32 0, v1
	s_cbranch_execz .LBB9_43
; %bb.42:
	v_mov_b32_e32 v2, 0xfeffffff
	v_mov_b32_e32 v3, 0
	ds_write2_b32 v10, v2, v2 offset1:32
	ds_write2_b32 v4, v3, v3 offset1:32
.LBB9_43:
	s_or_b32 exec_lo, exec_lo, s0
	v_cmp_eq_u32_e64 s0, 0, v0
	s_waitcnt lgkmcnt(0)
	s_barrier
	buffer_gl0_inv
	s_and_saveexec_b32 s1, s0
; %bb.44:
	v_lshlrev_b32_e32 v2, 2, v1
	v_add_nc_u32_e32 v2, 0x400, v2
	ds_write2_b32 v2, v30, v31 offset1:32
; %bb.45:
	s_or_b32 exec_lo, exec_lo, s1
	s_cmp_lt_i32 s30, s36
	s_waitcnt lgkmcnt(0)
	s_barrier
	buffer_gl0_inv
	s_cbranch_scc1 .LBB9_47
; %bb.46:
	s_add_u32 s2, s6, 0xd0
	s_addc_u32 s3, s7, 0
	s_cbranch_execz .LBB9_48
	s_branch .LBB9_60
.LBB9_47:
                                        ; implicit-def: $sgpr2_sgpr3
.LBB9_48:
	ds_read_b32 v2, v10
	v_xor_b32_e32 v3, 16, v37
	v_xor_b32_e32 v6, 8, v37
	;; [unrolled: 1-line block ×3, first 2 shown]
	v_lshlrev_b32_e32 v17, 3, v0
	v_cmp_gt_i32_e32 vcc_lo, 32, v3
	v_and_b32_e32 v14, 0x380, v17
	v_cndmask_b32_e32 v3, v37, v3, vcc_lo
	v_cmp_gt_i32_e32 vcc_lo, 32, v6
	v_lshl_add_u32 v18, v1, 8, v14
	v_lshl_add_u32 v1, v1, 2, 0x500
	v_lshlrev_b32_e32 v5, 2, v3
	v_cndmask_b32_e32 v6, v37, v6, vcc_lo
	v_cmp_gt_i32_e32 vcc_lo, 32, v7
	s_waitcnt lgkmcnt(0)
	ds_bpermute_b32 v3, v5, v2
	v_max_f32_e32 v2, v2, v2
	v_lshlrev_b32_e32 v6, 2, v6
	v_cndmask_b32_e32 v7, v37, v7, vcc_lo
	v_lshlrev_b32_e32 v8, 2, v7
	v_xor_b32_e32 v7, 2, v37
	v_cmp_gt_i32_e32 vcc_lo, 32, v7
	v_cndmask_b32_e32 v7, v37, v7, vcc_lo
	s_waitcnt lgkmcnt(0)
	v_max_f32_e32 v3, v3, v3
	v_lshlrev_b32_e32 v9, 2, v7
	v_max_f32_e32 v2, v2, v3
	v_xor_b32_e32 v7, 1, v37
	ds_bpermute_b32 v3, v6, v2
	v_cmp_gt_i32_e32 vcc_lo, 32, v7
	v_cndmask_b32_e32 v7, v37, v7, vcc_lo
	v_lshlrev_b32_e32 v7, 2, v7
	s_waitcnt lgkmcnt(0)
	v_max_f32_e32 v3, v3, v3
	v_max_f32_e32 v2, v2, v3
	ds_bpermute_b32 v3, v8, v2
	s_waitcnt lgkmcnt(0)
	v_max_f32_e32 v3, v3, v3
	v_max_f32_e32 v2, v2, v3
	ds_bpermute_b32 v3, v9, v2
	;; [unrolled: 4-line block ×3, first 2 shown]
	s_waitcnt lgkmcnt(0)
	v_max_f32_e32 v3, v3, v3
	v_max_f32_e32 v2, v2, v3
	v_sub_f32_e32 v3, v30, v2
	v_mul_f32_e32 v11, 0x3fb8aa3b, v3
	v_cmp_ngt_f32_e32 vcc_lo, 0xc2ce8ed0, v3
	v_fma_f32 v12, 0x3fb8aa3b, v3, -v11
	v_rndne_f32_e32 v13, v11
	v_fmamk_f32 v12, v3, 0x32a5705f, v12
	v_sub_f32_e32 v11, v11, v13
	v_add_f32_e32 v11, v11, v12
	v_cvt_i32_f32_e32 v12, v13
	v_mov_b32_e32 v13, 0x10001
	v_exp_f32_e32 v11, v11
	v_ldexp_f32 v11, v11, v12
	v_cndmask_b32_e32 v11, 0, v11, vcc_lo
	v_cmp_nlt_f32_e32 vcc_lo, 0x42b17218, v3
	v_cndmask_b32_e32 v3, 0x7f800000, v11, vcc_lo
	v_mul_f32_e32 v11, v38, v3
	ds_bpermute_b32 v11, v5, v11
	s_waitcnt lgkmcnt(0)
	v_fmac_f32_e32 v11, v38, v3
	v_cvt_f16_f32_e32 v3, v3
	ds_bpermute_b32 v12, v6, v11
	v_mul_u32_u24_sdwa v3, v3, v13 dst_sel:DWORD dst_unused:UNUSED_PAD src0_sel:WORD_0 src1_sel:DWORD
	s_waitcnt lgkmcnt(0)
	v_add_f32_e32 v11, v11, v12
	ds_bpermute_b32 v12, v8, v11
	s_waitcnt lgkmcnt(0)
	v_add_f32_e32 v11, v11, v12
	ds_bpermute_b32 v12, v9, v11
	s_waitcnt lgkmcnt(0)
	v_add_f32_e32 v15, v11, v12
	ds_read_b64 v[11:12], v35
	ds_bpermute_b32 v16, v7, v15
	s_waitcnt lgkmcnt(1)
	v_pk_mul_f16 v13, v11, v3
	v_pk_mul_f16 v14, v12, v3
	v_and_or_b32 v11, 0x78, v17, v18
	ds_write_b64 v35, v[13:14]
	ds_write_b64 v11, v[13:14]
	s_waitcnt lgkmcnt(2)
	v_add_f32_e32 v38, v15, v16
	s_and_saveexec_b32 s1, s0
; %bb.49:
	ds_write_b32 v1, v38
; %bb.50:
	s_or_b32 exec_lo, exec_lo, s1
	v_cmp_gt_u32_e64 s1, 64, v32
	s_mul_i32 s4, s33, s36
	s_add_u32 s2, s6, 0xd0
	s_addc_u32 s3, s7, 0
	s_add_i32 s4, s30, s4
	s_waitcnt lgkmcnt(0)
	s_barrier
	buffer_gl0_inv
	s_and_saveexec_b32 s5, s1
	s_cbranch_execz .LBB9_52
; %bb.51:
	ds_read_b32 v3, v4
	ds_read_u16 v12, v33
	ds_read_u16 v13, v33 offset:128
	ds_read_u16 v14, v33 offset:256
	;; [unrolled: 1-line block ×6, first 2 shown]
	s_load_dword s6, s[2:3], 0x4
	s_mul_i32 s7, s4, s37
	s_add_i32 s7, s7, s38
	s_waitcnt lgkmcnt(0)
	ds_bpermute_b32 v19, v5, v3
	v_cvt_f32_f16_e32 v12, v12
	v_cvt_f32_f16_e32 v13, v13
	v_cvt_f32_f16_e32 v14, v14
	v_cvt_f32_f16_e32 v15, v15
	v_add_f32_e32 v12, 0, v12
	s_mul_i32 s7, s6, s7
	s_add_i32 s7, s7, s34
	v_add_f32_e32 v12, v12, v13
	ds_read_u16 v13, v33 offset:896
	s_cmp_eq_u32 s6, 1
	v_add_f32_e32 v12, v12, v14
	v_cvt_f32_f16_e32 v14, v16
	v_cvt_f32_f16_e32 v16, v17
	s_waitcnt lgkmcnt(1)
	v_add_f32_e32 v3, v3, v19
	v_add_f32_e32 v12, v12, v15
	ds_bpermute_b32 v19, v6, v3
	v_add_f32_e32 v12, v12, v14
	v_cvt_f32_f16_e32 v14, v18
	v_add_f32_e32 v12, v12, v16
	s_waitcnt lgkmcnt(1)
	v_cvt_f32_f16_e32 v13, v13
	v_add_f32_e32 v12, v12, v14
	v_add_f32_e32 v14, v12, v13
	v_mov_b32_e32 v13, 0
	s_waitcnt lgkmcnt(0)
	v_add_f32_e32 v3, v3, v19
	ds_bpermute_b32 v19, v8, v3
	s_waitcnt lgkmcnt(0)
	v_add_f32_e32 v3, v3, v19
	ds_bpermute_b32 v19, v9, v3
	;; [unrolled: 3-line block ×3, first 2 shown]
	s_waitcnt lgkmcnt(0)
	v_add_f32_e32 v38, v3, v15
	v_div_scale_f32 v3, null, v38, v38, v14
	v_div_scale_f32 v16, vcc_lo, v14, v38, v14
	v_rcp_f32_e32 v15, v3
	v_fma_f32 v12, -v3, v15, 1.0
	v_fmac_f32_e32 v15, v12, v15
	v_mul_f32_e32 v17, v16, v15
	v_fma_f32 v12, -v3, v17, v16
	v_fmac_f32_e32 v17, v12, v15
	v_lshl_or_b32 v12, s7, 6, v32
	v_fma_f32 v3, -v3, v17, v16
	v_lshlrev_b64 v[12:13], 2, v[12:13]
	v_div_fmas_f32 v3, v3, v15, v17
	v_add_co_u32 v12, vcc_lo, s24, v12
	v_add_co_ci_u32_e64 v13, null, s25, v13, vcc_lo
	v_div_fixup_f32 v3, v3, v38, v14
	s_cselect_b32 vcc_lo, -1, 0
	v_cndmask_b32_e32 v3, v14, v3, vcc_lo
	global_store_dword v[12:13], v3, off
.LBB9_52:
	s_or_b32 exec_lo, exec_lo, s5
	s_or_b32 s5, s30, 1
	s_waitcnt_vscnt null, 0x0
	s_cmp_ge_i32 s5, s36
	s_barrier
	buffer_gl0_inv
	s_cbranch_scc1 .LBB9_58
; %bb.53:
	ds_read_b32 v3, v10 offset:128
	v_mov_b32_e32 v16, 0x10001
	s_waitcnt lgkmcnt(0)
	ds_bpermute_b32 v10, v5, v3
	v_max_f32_e32 v3, v3, v3
	s_waitcnt lgkmcnt(0)
	v_max_f32_e32 v10, v10, v10
	v_max_f32_e32 v3, v3, v10
	ds_bpermute_b32 v10, v6, v3
	s_waitcnt lgkmcnt(0)
	v_max_f32_e32 v10, v10, v10
	v_max_f32_e32 v3, v3, v10
	ds_bpermute_b32 v10, v8, v3
	;; [unrolled: 4-line block ×4, first 2 shown]
	s_waitcnt lgkmcnt(0)
	v_max_f32_e32 v10, v10, v10
	v_max_f32_e32 v3, v3, v10
	v_sub_f32_e32 v10, v31, v3
	v_mul_f32_e32 v12, 0x3fb8aa3b, v10
	v_cmp_ngt_f32_e32 vcc_lo, 0xc2ce8ed0, v10
	v_fma_f32 v13, 0x3fb8aa3b, v10, -v12
	v_rndne_f32_e32 v14, v12
	v_fmamk_f32 v13, v10, 0x32a5705f, v13
	v_sub_f32_e32 v12, v12, v14
	v_add_f32_e32 v12, v12, v13
	v_cvt_i32_f32_e32 v13, v14
	v_exp_f32_e32 v12, v12
	v_ldexp_f32 v12, v12, v13
	v_cndmask_b32_e32 v12, 0, v12, vcc_lo
	v_cmp_nlt_f32_e32 vcc_lo, 0x42b17218, v10
	v_cndmask_b32_e32 v10, 0x7f800000, v12, vcc_lo
	v_mul_f32_e32 v12, v39, v10
	ds_bpermute_b32 v12, v5, v12
	s_waitcnt lgkmcnt(0)
	v_fmac_f32_e32 v12, v39, v10
	v_cvt_f16_f32_e32 v10, v10
	ds_bpermute_b32 v13, v6, v12
	v_mul_u32_u24_sdwa v10, v10, v16 dst_sel:DWORD dst_unused:UNUSED_PAD src0_sel:WORD_0 src1_sel:DWORD
	s_waitcnt lgkmcnt(0)
	v_add_f32_e32 v12, v12, v13
	ds_bpermute_b32 v13, v8, v12
	s_waitcnt lgkmcnt(0)
	v_add_f32_e32 v12, v12, v13
	ds_bpermute_b32 v13, v9, v12
	s_waitcnt lgkmcnt(0)
	v_add_f32_e32 v14, v12, v13
	ds_read_b64 v[12:13], v35 offset:8
	ds_bpermute_b32 v15, v7, v14
	s_waitcnt lgkmcnt(1)
	v_pk_mul_f16 v12, v12, v10
	v_pk_mul_f16 v13, v13, v10
	ds_write_b64 v35, v[12:13] offset:8
	ds_write_b64 v11, v[12:13]
	s_waitcnt lgkmcnt(2)
	v_add_f32_e32 v39, v14, v15
	s_and_saveexec_b32 s5, s0
; %bb.54:
	ds_write_b32 v1, v39 offset:128
; %bb.55:
	s_or_b32 exec_lo, exec_lo, s5
	s_waitcnt lgkmcnt(0)
	s_barrier
	buffer_gl0_inv
	s_and_saveexec_b32 s0, s1
	s_cbranch_execz .LBB9_57
; %bb.56:
	ds_read_b32 v1, v4 offset:128
	ds_read_u16 v4, v33
	ds_read_u16 v10, v33 offset:128
	ds_read_u16 v11, v33 offset:256
	;; [unrolled: 1-line block ×6, first 2 shown]
	s_load_dword s1, s[2:3], 0x4
	s_add_i32 s4, s4, 1
	s_mul_i32 s4, s4, s37
	s_add_i32 s4, s4, s38
	s_waitcnt lgkmcnt(0)
	ds_bpermute_b32 v5, v5, v1
	v_cvt_f32_f16_e32 v4, v4
	v_add_f32_e32 v4, 0, v4
	s_mul_i32 s4, s1, s4
	s_add_i32 s4, s4, s34
	s_cmp_eq_u32 s1, 1
	s_waitcnt lgkmcnt(0)
	v_add_f32_e32 v1, v1, v5
	ds_bpermute_b32 v5, v6, v1
	v_cvt_f32_f16_e32 v6, v10
	v_add_f32_e32 v4, v4, v6
	ds_read_u16 v6, v33 offset:896
	s_waitcnt lgkmcnt(1)
	v_add_f32_e32 v1, v1, v5
	ds_bpermute_b32 v5, v8, v1
	v_cvt_f32_f16_e32 v8, v11
	s_waitcnt lgkmcnt(1)
	v_cvt_f32_f16_e32 v6, v6
	v_add_f32_e32 v4, v4, v8
	v_cvt_f32_f16_e32 v8, v14
	s_waitcnt lgkmcnt(0)
	v_add_f32_e32 v1, v1, v5
	ds_bpermute_b32 v5, v9, v1
	v_cvt_f32_f16_e32 v9, v12
	v_add_f32_e32 v4, v4, v9
	s_waitcnt lgkmcnt(0)
	v_add_f32_e32 v1, v1, v5
	v_cvt_f32_f16_e32 v5, v13
	ds_bpermute_b32 v7, v7, v1
	v_add_f32_e32 v4, v4, v5
	v_cvt_f32_f16_e32 v5, v15
	v_add_f32_e32 v4, v4, v8
	v_add_f32_e32 v4, v4, v5
	v_mov_b32_e32 v5, 0
	v_add_f32_e32 v6, v4, v6
	s_waitcnt lgkmcnt(0)
	v_add_f32_e32 v39, v1, v7
	v_div_scale_f32 v1, null, v39, v39, v6
	v_div_scale_f32 v8, vcc_lo, v6, v39, v6
	v_rcp_f32_e32 v7, v1
	v_fma_f32 v4, -v1, v7, 1.0
	v_fmac_f32_e32 v7, v4, v7
	v_mul_f32_e32 v9, v8, v7
	v_fma_f32 v4, -v1, v9, v8
	v_fmac_f32_e32 v9, v4, v7
	v_lshl_or_b32 v4, s4, 6, v32
	v_fma_f32 v1, -v1, v9, v8
	v_lshlrev_b64 v[4:5], 2, v[4:5]
	v_div_fmas_f32 v1, v1, v7, v9
	v_add_co_u32 v4, vcc_lo, s24, v4
	v_add_co_ci_u32_e64 v5, null, s25, v5, vcc_lo
	v_div_fixup_f32 v1, v1, v39, v6
	s_cselect_b32 vcc_lo, -1, 0
	v_cndmask_b32_e32 v1, v6, v1, vcc_lo
	global_store_dword v[4:5], v1, off
.LBB9_57:
	s_or_b32 exec_lo, exec_lo, s0
	s_branch .LBB9_59
.LBB9_58:
	v_mov_b32_e32 v3, v31
.LBB9_59:
	v_mov_b32_e32 v31, v3
	v_mov_b32_e32 v30, v2
.LBB9_60:
	s_load_dword s1, s[2:3], 0x4
	v_or_b32_e32 v0, s30, v0
	v_cmp_gt_u32_e32 vcc_lo, 2, v32
	v_cmp_gt_i32_e64 s0, s36, v0
	s_waitcnt lgkmcnt(0)
	s_cmp_lg_u32 s1, 1
	s_cselect_b32 s2, -1, 0
	s_and_b32 s2, s2, vcc_lo
	s_and_b32 s0, s2, s0
	s_and_saveexec_b32 s2, s0
	s_cbranch_execz .LBB9_62
; %bb.61:
	v_mad_u64_u32 v[0:1], null, s33, s36, v[0:1]
	v_cmp_eq_u32_e32 vcc_lo, 1, v32
	v_cndmask_b32_e32 v2, v30, v31, vcc_lo
	v_mad_u64_u32 v[0:1], null, v0, s37, s[38:39]
	v_cndmask_b32_e32 v3, v38, v39, vcc_lo
	v_mad_u64_u32 v[0:1], null, s1, v0, s[34:35]
	v_mov_b32_e32 v1, 0
	v_lshlrev_b64 v[0:1], 3, v[0:1]
	v_add_co_u32 v0, vcc_lo, s26, v0
	v_add_co_ci_u32_e64 v1, null, s27, v1, vcc_lo
	global_store_dwordx2 v[0:1], v[2:3], off
.LBB9_62:
	s_endpgm
	.section	.rodata,"a",@progbits
	.p2align	6, 0x0
	.amdhsa_kernel _ZL18flash_attn_ext_vecILi64ELi2EL9ggml_type2ELS0_8ELb0EEvPKcS2_S2_S2_S2_PKiPfP15HIP_vector_typeIfLj2EEffffjfiS6_IjLj3EEiiiiiiiiiiiliiliiiiil
		.amdhsa_group_segment_fixed_size 3584
		.amdhsa_private_segment_fixed_size 0
		.amdhsa_kernarg_size 464
		.amdhsa_user_sgpr_count 8
		.amdhsa_user_sgpr_private_segment_buffer 1
		.amdhsa_user_sgpr_dispatch_ptr 1
		.amdhsa_user_sgpr_queue_ptr 0
		.amdhsa_user_sgpr_kernarg_segment_ptr 1
		.amdhsa_user_sgpr_dispatch_id 0
		.amdhsa_user_sgpr_flat_scratch_init 0
		.amdhsa_user_sgpr_private_segment_size 0
		.amdhsa_wavefront_size32 1
		.amdhsa_uses_dynamic_stack 0
		.amdhsa_system_sgpr_private_segment_wavefront_offset 0
		.amdhsa_system_sgpr_workgroup_id_x 1
		.amdhsa_system_sgpr_workgroup_id_y 1
		.amdhsa_system_sgpr_workgroup_id_z 1
		.amdhsa_system_sgpr_workgroup_info 0
		.amdhsa_system_vgpr_workitem_id 2
		.amdhsa_next_free_vgpr 147
		.amdhsa_next_free_sgpr 54
		.amdhsa_reserve_vcc 1
		.amdhsa_reserve_flat_scratch 0
		.amdhsa_float_round_mode_32 0
		.amdhsa_float_round_mode_16_64 0
		.amdhsa_float_denorm_mode_32 3
		.amdhsa_float_denorm_mode_16_64 3
		.amdhsa_dx10_clamp 1
		.amdhsa_ieee_mode 1
		.amdhsa_fp16_overflow 0
		.amdhsa_workgroup_processor_mode 1
		.amdhsa_memory_ordered 1
		.amdhsa_forward_progress 1
		.amdhsa_shared_vgpr_count 0
		.amdhsa_exception_fp_ieee_invalid_op 0
		.amdhsa_exception_fp_denorm_src 0
		.amdhsa_exception_fp_ieee_div_zero 0
		.amdhsa_exception_fp_ieee_overflow 0
		.amdhsa_exception_fp_ieee_underflow 0
		.amdhsa_exception_fp_ieee_inexact 0
		.amdhsa_exception_int_div_zero 0
	.end_amdhsa_kernel
	.section	.text._ZL18flash_attn_ext_vecILi64ELi2EL9ggml_type2ELS0_8ELb0EEvPKcS2_S2_S2_S2_PKiPfP15HIP_vector_typeIfLj2EEffffjfiS6_IjLj3EEiiiiiiiiiiiliiliiiiil,"axG",@progbits,_ZL18flash_attn_ext_vecILi64ELi2EL9ggml_type2ELS0_8ELb0EEvPKcS2_S2_S2_S2_PKiPfP15HIP_vector_typeIfLj2EEffffjfiS6_IjLj3EEiiiiiiiiiiiliiliiiiil,comdat
.Lfunc_end9:
	.size	_ZL18flash_attn_ext_vecILi64ELi2EL9ggml_type2ELS0_8ELb0EEvPKcS2_S2_S2_S2_PKiPfP15HIP_vector_typeIfLj2EEffffjfiS6_IjLj3EEiiiiiiiiiiiliiliiiiil, .Lfunc_end9-_ZL18flash_attn_ext_vecILi64ELi2EL9ggml_type2ELS0_8ELb0EEvPKcS2_S2_S2_S2_PKiPfP15HIP_vector_typeIfLj2EEffffjfiS6_IjLj3EEiiiiiiiiiiiliiliiiiil
                                        ; -- End function
	.set _ZL18flash_attn_ext_vecILi64ELi2EL9ggml_type2ELS0_8ELb0EEvPKcS2_S2_S2_S2_PKiPfP15HIP_vector_typeIfLj2EEffffjfiS6_IjLj3EEiiiiiiiiiiiliiliiiiil.num_vgpr, 147
	.set _ZL18flash_attn_ext_vecILi64ELi2EL9ggml_type2ELS0_8ELb0EEvPKcS2_S2_S2_S2_PKiPfP15HIP_vector_typeIfLj2EEffffjfiS6_IjLj3EEiiiiiiiiiiiliiliiiiil.num_agpr, 0
	.set _ZL18flash_attn_ext_vecILi64ELi2EL9ggml_type2ELS0_8ELb0EEvPKcS2_S2_S2_S2_PKiPfP15HIP_vector_typeIfLj2EEffffjfiS6_IjLj3EEiiiiiiiiiiiliiliiiiil.numbered_sgpr, 54
	.set _ZL18flash_attn_ext_vecILi64ELi2EL9ggml_type2ELS0_8ELb0EEvPKcS2_S2_S2_S2_PKiPfP15HIP_vector_typeIfLj2EEffffjfiS6_IjLj3EEiiiiiiiiiiiliiliiiiil.num_named_barrier, 0
	.set _ZL18flash_attn_ext_vecILi64ELi2EL9ggml_type2ELS0_8ELb0EEvPKcS2_S2_S2_S2_PKiPfP15HIP_vector_typeIfLj2EEffffjfiS6_IjLj3EEiiiiiiiiiiiliiliiiiil.private_seg_size, 0
	.set _ZL18flash_attn_ext_vecILi64ELi2EL9ggml_type2ELS0_8ELb0EEvPKcS2_S2_S2_S2_PKiPfP15HIP_vector_typeIfLj2EEffffjfiS6_IjLj3EEiiiiiiiiiiiliiliiiiil.uses_vcc, 1
	.set _ZL18flash_attn_ext_vecILi64ELi2EL9ggml_type2ELS0_8ELb0EEvPKcS2_S2_S2_S2_PKiPfP15HIP_vector_typeIfLj2EEffffjfiS6_IjLj3EEiiiiiiiiiiiliiliiiiil.uses_flat_scratch, 0
	.set _ZL18flash_attn_ext_vecILi64ELi2EL9ggml_type2ELS0_8ELb0EEvPKcS2_S2_S2_S2_PKiPfP15HIP_vector_typeIfLj2EEffffjfiS6_IjLj3EEiiiiiiiiiiiliiliiiiil.has_dyn_sized_stack, 0
	.set _ZL18flash_attn_ext_vecILi64ELi2EL9ggml_type2ELS0_8ELb0EEvPKcS2_S2_S2_S2_PKiPfP15HIP_vector_typeIfLj2EEffffjfiS6_IjLj3EEiiiiiiiiiiiliiliiiiil.has_recursion, 0
	.set _ZL18flash_attn_ext_vecILi64ELi2EL9ggml_type2ELS0_8ELb0EEvPKcS2_S2_S2_S2_PKiPfP15HIP_vector_typeIfLj2EEffffjfiS6_IjLj3EEiiiiiiiiiiiliiliiiiil.has_indirect_call, 0
	.section	.AMDGPU.csdata,"",@progbits
; Kernel info:
; codeLenInByte = 13840
; TotalNumSgprs: 56
; NumVgprs: 147
; ScratchSize: 0
; MemoryBound: 0
; FloatMode: 240
; IeeeMode: 1
; LDSByteSize: 3584 bytes/workgroup (compile time only)
; SGPRBlocks: 0
; VGPRBlocks: 18
; NumSGPRsForWavesPerEU: 56
; NumVGPRsForWavesPerEU: 147
; Occupancy: 6
; WaveLimiterHint : 0
; COMPUTE_PGM_RSRC2:SCRATCH_EN: 0
; COMPUTE_PGM_RSRC2:USER_SGPR: 8
; COMPUTE_PGM_RSRC2:TRAP_HANDLER: 0
; COMPUTE_PGM_RSRC2:TGID_X_EN: 1
; COMPUTE_PGM_RSRC2:TGID_Y_EN: 1
; COMPUTE_PGM_RSRC2:TGID_Z_EN: 1
; COMPUTE_PGM_RSRC2:TIDIG_COMP_CNT: 2
	.section	.text._ZL25flash_attn_mask_to_KV_maxILi2EEvPK7__half2Piiii,"axG",@progbits,_ZL25flash_attn_mask_to_KV_maxILi2EEvPK7__half2Piiii,comdat
	.globl	_ZL25flash_attn_mask_to_KV_maxILi2EEvPK7__half2Piiii ; -- Begin function _ZL25flash_attn_mask_to_KV_maxILi2EEvPK7__half2Piiii
	.p2align	8
	.type	_ZL25flash_attn_mask_to_KV_maxILi2EEvPK7__half2Piiii,@function
_ZL25flash_attn_mask_to_KV_maxILi2EEvPK7__half2Piiii: ; @_ZL25flash_attn_mask_to_KV_maxILi2EEvPK7__half2Piiii
; %bb.0:
	s_load_dwordx4 s[8:11], s[4:5], 0x0
	s_mov_b32 s0, exec_lo
	v_cmpx_gt_u32_e32 32, v0
; %bb.1:
	v_lshlrev_b32_e32 v1, 2, v0
	v_mov_b32_e32 v2, 1
	ds_write_b32 v1, v2
; %bb.2:
	s_or_b32 exec_lo, exec_lo, s0
	s_clause 0x1
	s_load_dwordx4 s[12:15], s[4:5], 0x10
	s_load_dword s1, s[4:5], 0x20
	v_and_b32_e32 v1, 31, v0
	v_lshrrev_b32_e32 v3, 3, v0
	v_mov_b32_e32 v2, 0
	v_mov_b32_e32 v4, 0x204
	s_waitcnt lgkmcnt(0)
	v_lshlrev_b32_e32 v5, 2, v1
	s_barrier
	buffer_gl0_inv
	s_mul_i32 s0, s6, s13
	s_mul_i32 s2, s14, s7
	s_lshl_b32 s0, s0, 1
	s_add_i32 s2, s2, s0
	v_cmp_eq_u32_e64 s0, 0, v1
	s_ashr_i32 s3, s2, 31
	s_lshl_b64 s[4:5], s[2:3], 2
	s_add_u32 s3, s8, s4
	s_addc_u32 s4, s9, s5
	s_lshl_b32 s5, s12, 8
	s_branch .LBB10_4
.LBB10_3:                               ;   in Loop: Header=BB10_4 Depth=1
	s_or_b32 exec_lo, exec_lo, s8
	s_waitcnt lgkmcnt(0)
	s_barrier
	buffer_gl0_inv
	ds_read_b32 v1, v5
	s_waitcnt lgkmcnt(0)
	s_barrier
	buffer_gl0_inv
	v_cmp_ne_u32_e32 vcc_lo, 0, v1
	s_cmp_lg_u32 vcc_lo, exec_lo
	s_cselect_b32 s8, -1, 0
	s_and_b32 vcc_lo, exec_lo, s8
	s_cbranch_vccnz .LBB10_12
.LBB10_4:                               ; =>This Inner Loop Header: Depth=1
	s_mov_b32 s2, s5
	s_addk_i32 s5, 0xff00
	s_cmp_lt_i32 s5, 0
	s_cbranch_scc1 .LBB10_11
; %bb.5:                                ;   in Loop: Header=BB10_4 Depth=1
	s_lshr_b32 s8, s5, 1
	v_add_nc_u32_e32 v1, s8, v0
	v_lshlrev_b64 v[6:7], 2, v[1:2]
	v_add_co_u32 v6, vcc_lo, s3, v6
	v_add_co_ci_u32_e64 v7, null, s4, v7, vcc_lo
	global_load_dword v6, v[6:7], off
	s_waitcnt vmcnt(0)
	v_cmp_class_f16_e64 s8, v6, 0x204
	v_cmp_class_f16_sdwa s9, v6, v4 src0_sel:WORD_1 src1_sel:DWORD
	s_and_b32 s12, s8, s9
	s_mov_b32 s9, 0
	s_and_saveexec_b32 s8, s12
	s_cbranch_execz .LBB10_9
; %bb.6:                                ;   in Loop: Header=BB10_4 Depth=1
	v_add_nc_u32_e32 v6, s13, v1
	v_ashrrev_i32_e32 v7, 31, v6
	v_lshlrev_b64 v[6:7], 2, v[6:7]
	v_add_co_u32 v6, vcc_lo, s3, v6
	v_add_co_ci_u32_e64 v7, null, s4, v7, vcc_lo
	global_load_dword v1, v[6:7], off
	s_waitcnt vmcnt(0)
	v_cmp_class_f16_e64 s14, v1, 0x204
	s_and_saveexec_b32 s12, s14
; %bb.7:                                ;   in Loop: Header=BB10_4 Depth=1
	v_cmp_class_f16_sdwa s9, v1, v4 src0_sel:WORD_1 src1_sel:DWORD
	s_and_b32 s9, s9, exec_lo
; %bb.8:                                ;   in Loop: Header=BB10_4 Depth=1
	s_or_b32 exec_lo, exec_lo, s12
	s_and_b32 s9, s9, exec_lo
.LBB10_9:                               ;   in Loop: Header=BB10_4 Depth=1
	s_or_b32 exec_lo, exec_lo, s8
	v_cndmask_b32_e64 v1, 0, 1, s9
	s_mov_b32 s12, exec_lo
	v_cmp_ne_u32_e32 vcc_lo, 0, v1
	s_and_saveexec_b32 s8, s0
	s_cbranch_execz .LBB10_3
; %bb.10:                               ;   in Loop: Header=BB10_4 Depth=1
	s_cmp_eq_u32 vcc_lo, s12
	s_cselect_b32 s9, -1, 0
	v_cndmask_b32_e64 v1, 0, 1, s9
	ds_write_b32 v3, v1
	s_branch .LBB10_3
.LBB10_11:                              ;   in Loop: Header=BB10_4 Depth=1
	s_cbranch_execz .LBB10_4
.LBB10_12:
	s_mov_b32 s0, exec_lo
	v_cmpx_eq_u32_e32 0, v0
	s_cbranch_execz .LBB10_14
; %bb.13:
	s_mul_i32 s0, s1, s7
	v_mov_b32_e32 v0, 0
	s_add_i32 s0, s0, s6
	v_mov_b32_e32 v1, s2
	s_ashr_i32 s1, s0, 31
	s_lshl_b64 s[0:1], s[0:1], 2
	s_add_u32 s0, s10, s0
	s_addc_u32 s1, s11, s1
	global_store_dword v0, v1, s[0:1]
.LBB10_14:
	s_endpgm
	.section	.rodata,"a",@progbits
	.p2align	6, 0x0
	.amdhsa_kernel _ZL25flash_attn_mask_to_KV_maxILi2EEvPK7__half2Piiii
		.amdhsa_group_segment_fixed_size 128
		.amdhsa_private_segment_fixed_size 0
		.amdhsa_kernarg_size 288
		.amdhsa_user_sgpr_count 6
		.amdhsa_user_sgpr_private_segment_buffer 1
		.amdhsa_user_sgpr_dispatch_ptr 0
		.amdhsa_user_sgpr_queue_ptr 0
		.amdhsa_user_sgpr_kernarg_segment_ptr 1
		.amdhsa_user_sgpr_dispatch_id 0
		.amdhsa_user_sgpr_flat_scratch_init 0
		.amdhsa_user_sgpr_private_segment_size 0
		.amdhsa_wavefront_size32 1
		.amdhsa_uses_dynamic_stack 0
		.amdhsa_system_sgpr_private_segment_wavefront_offset 0
		.amdhsa_system_sgpr_workgroup_id_x 1
		.amdhsa_system_sgpr_workgroup_id_y 1
		.amdhsa_system_sgpr_workgroup_id_z 0
		.amdhsa_system_sgpr_workgroup_info 0
		.amdhsa_system_vgpr_workitem_id 0
		.amdhsa_next_free_vgpr 8
		.amdhsa_next_free_sgpr 16
		.amdhsa_reserve_vcc 1
		.amdhsa_reserve_flat_scratch 0
		.amdhsa_float_round_mode_32 0
		.amdhsa_float_round_mode_16_64 0
		.amdhsa_float_denorm_mode_32 3
		.amdhsa_float_denorm_mode_16_64 3
		.amdhsa_dx10_clamp 1
		.amdhsa_ieee_mode 1
		.amdhsa_fp16_overflow 0
		.amdhsa_workgroup_processor_mode 1
		.amdhsa_memory_ordered 1
		.amdhsa_forward_progress 1
		.amdhsa_shared_vgpr_count 0
		.amdhsa_exception_fp_ieee_invalid_op 0
		.amdhsa_exception_fp_denorm_src 0
		.amdhsa_exception_fp_ieee_div_zero 0
		.amdhsa_exception_fp_ieee_overflow 0
		.amdhsa_exception_fp_ieee_underflow 0
		.amdhsa_exception_fp_ieee_inexact 0
		.amdhsa_exception_int_div_zero 0
	.end_amdhsa_kernel
	.section	.text._ZL25flash_attn_mask_to_KV_maxILi2EEvPK7__half2Piiii,"axG",@progbits,_ZL25flash_attn_mask_to_KV_maxILi2EEvPK7__half2Piiii,comdat
.Lfunc_end10:
	.size	_ZL25flash_attn_mask_to_KV_maxILi2EEvPK7__half2Piiii, .Lfunc_end10-_ZL25flash_attn_mask_to_KV_maxILi2EEvPK7__half2Piiii
                                        ; -- End function
	.set _ZL25flash_attn_mask_to_KV_maxILi2EEvPK7__half2Piiii.num_vgpr, 8
	.set _ZL25flash_attn_mask_to_KV_maxILi2EEvPK7__half2Piiii.num_agpr, 0
	.set _ZL25flash_attn_mask_to_KV_maxILi2EEvPK7__half2Piiii.numbered_sgpr, 16
	.set _ZL25flash_attn_mask_to_KV_maxILi2EEvPK7__half2Piiii.num_named_barrier, 0
	.set _ZL25flash_attn_mask_to_KV_maxILi2EEvPK7__half2Piiii.private_seg_size, 0
	.set _ZL25flash_attn_mask_to_KV_maxILi2EEvPK7__half2Piiii.uses_vcc, 1
	.set _ZL25flash_attn_mask_to_KV_maxILi2EEvPK7__half2Piiii.uses_flat_scratch, 0
	.set _ZL25flash_attn_mask_to_KV_maxILi2EEvPK7__half2Piiii.has_dyn_sized_stack, 0
	.set _ZL25flash_attn_mask_to_KV_maxILi2EEvPK7__half2Piiii.has_recursion, 0
	.set _ZL25flash_attn_mask_to_KV_maxILi2EEvPK7__half2Piiii.has_indirect_call, 0
	.section	.AMDGPU.csdata,"",@progbits
; Kernel info:
; codeLenInByte = 500
; TotalNumSgprs: 18
; NumVgprs: 8
; ScratchSize: 0
; MemoryBound: 0
; FloatMode: 240
; IeeeMode: 1
; LDSByteSize: 128 bytes/workgroup (compile time only)
; SGPRBlocks: 0
; VGPRBlocks: 0
; NumSGPRsForWavesPerEU: 18
; NumVGPRsForWavesPerEU: 8
; Occupancy: 16
; WaveLimiterHint : 0
; COMPUTE_PGM_RSRC2:SCRATCH_EN: 0
; COMPUTE_PGM_RSRC2:USER_SGPR: 6
; COMPUTE_PGM_RSRC2:TRAP_HANDLER: 0
; COMPUTE_PGM_RSRC2:TGID_X_EN: 1
; COMPUTE_PGM_RSRC2:TGID_Y_EN: 1
; COMPUTE_PGM_RSRC2:TGID_Z_EN: 0
; COMPUTE_PGM_RSRC2:TIDIG_COMP_CNT: 0
	.section	.text._ZL33flash_attn_stream_k_fixup_uniformILi64ELi2ELi1EEvPfPK15HIP_vector_typeIfLj2EEiiiiiiS1_IjLj3EES5_S5_,"axG",@progbits,_ZL33flash_attn_stream_k_fixup_uniformILi64ELi2ELi1EEvPfPK15HIP_vector_typeIfLj2EEiiiiiiS1_IjLj3EES5_S5_,comdat
	.globl	_ZL33flash_attn_stream_k_fixup_uniformILi64ELi2ELi1EEvPfPK15HIP_vector_typeIfLj2EEiiiiiiS1_IjLj3EES5_S5_ ; -- Begin function _ZL33flash_attn_stream_k_fixup_uniformILi64ELi2ELi1EEvPfPK15HIP_vector_typeIfLj2EEiiiiiiS1_IjLj3EES5_S5_
	.p2align	8
	.type	_ZL33flash_attn_stream_k_fixup_uniformILi64ELi2ELi1EEvPfPK15HIP_vector_typeIfLj2EEiiiiiiS1_IjLj3EES5_S5_,@function
_ZL33flash_attn_stream_k_fixup_uniformILi64ELi2ELi1EEvPfPK15HIP_vector_typeIfLj2EEiiiiiiS1_IjLj3EES5_S5_: ; @_ZL33flash_attn_stream_k_fixup_uniformILi64ELi2ELi1EEvPfPK15HIP_vector_typeIfLj2EEiiiiiiS1_IjLj3EES5_S5_
; %bb.0:
	s_clause 0x2
	s_load_dwordx8 s[12:19], s[4:5], 0x1c
	s_load_dwordx4 s[20:23], s[4:5], 0x3c
	s_load_dwordx2 s[10:11], s[4:5], 0x10
	s_waitcnt lgkmcnt(0)
	s_mul_hi_u32 s0, s15, s6
	s_add_i32 s0, s6, s0
	s_lshr_b32 s0, s0, s16
	s_mul_i32 s1, s0, s17
	s_sub_i32 s2, s6, s1
	s_mul_hi_u32 s1, s2, s18
	s_add_i32 s1, s2, s1
	s_lshr_b32 s1, s1, s19
	s_mul_i32 s3, s1, s20
	s_sub_i32 s2, s2, s3
	;; [unrolled: 5-line block ×3, first 2 shown]
	s_lshl_b32 s2, s15, 1
	s_add_i32 s2, s2, s7
	s_cmp_lt_i32 s2, s10
	s_cselect_b32 s2, -1, 0
	s_add_i32 s3, s9, s8
	s_cmp_lt_i32 s3, s13
	s_cselect_b32 s3, -1, 0
	s_and_b32 s2, s2, s3
	s_andn2_b32 vcc_lo, exec_lo, s2
	s_cbranch_vccnz .LBB11_6
; %bb.1:
	s_mul_i32 s0, s0, s10
	s_mul_i32 s10, s1, s13
	s_add_i32 s0, s0, s7
	s_mul_i32 s0, s0, s11
	s_add_i32 s13, s0, s8
	s_load_dwordx4 s[0:3], s[4:5], 0x0
	s_add_i32 s4, s13, s10
	s_mul_i32 s5, s11, s15
	s_add_i32 s4, s4, s9
	s_lshl_b32 s5, s5, 7
	s_lshl_b32 s4, s4, 6
	s_add_i32 s8, s7, s8
	s_add_i32 s5, s5, s4
	s_mul_i32 s4, s14, s6
	v_or_b32_e32 v1, s5, v0
	s_add_i32 s9, s4, s14
	v_ashrrev_i32_e32 v2, 31, v1
	v_lshlrev_b64 v[1:2], 2, v[1:2]
	s_waitcnt lgkmcnt(0)
	v_add_co_u32 v1, vcc_lo, s0, v1
	v_add_co_ci_u32_e64 v2, null, s1, v2, vcc_lo
	s_lshl_b32 s0, s9, 1
	s_add_i32 s0, s8, s0
	global_load_dword v5, v[1:2], off
	s_add_i32 s0, s0, -2
	s_ashr_i32 s1, s0, 31
	s_lshl_b64 s[0:1], s[0:1], 3
	s_add_u32 s0, s2, s0
	s_addc_u32 s1, s3, s1
	s_add_i32 s5, s9, -2
	s_load_dword s10, s[0:1], 0x4
	s_cmp_lt_i32 s5, s4
	s_cbranch_scc1 .LBB11_4
; %bb.2:
	s_lshl_b32 s16, s12, 3
	s_load_dword s11, s[0:1], 0x0
	s_ashr_i32 s17, s16, 31
	s_waitcnt lgkmcnt(0)
	v_mov_b32_e32 v6, s10
	s_lshl_b64 s[0:1], s[16:17], 2
	s_add_u32 s5, s2, s0
	s_addc_u32 s7, s3, s1
	s_add_i32 s6, s6, 1
	s_lshl_b32 s1, s8, 6
	s_mul_i32 s0, s14, s6
	s_lshl_b32 s6, s0, 7
	s_lshl_b32 s0, s0, 1
	s_add_i32 s1, s1, s6
	s_add_i32 s0, s8, s0
	v_or_b32_e32 v0, s1, v0
	s_lshl_b32 s1, s12, 1
	s_add_i32 s6, s9, -1
	s_add_i32 s0, s0, s1
	v_add_nc_u32_e32 v3, 0xffffff00, v0
	v_mov_b32_e32 v0, s11
	s_add_i32 s0, s0, -4
.LBB11_3:                               ; =>This Inner Loop Header: Depth=1
	v_ashrrev_i32_e32 v4, 31, v3
	s_ashr_i32 s1, s0, 31
	s_lshl_b64 s[8:9], s[0:1], 3
	s_add_u32 s8, s2, s8
	v_lshlrev_b64 v[7:8], 2, v[3:4]
	s_addc_u32 s9, s3, s9
	v_add_nc_u32_e32 v3, 0xffffff80, v3
	s_add_i32 s6, s6, -1
	s_add_i32 s0, s0, -2
	s_cmp_le_i32 s6, s4
	v_add_co_u32 v7, vcc_lo, s5, v7
	v_add_co_ci_u32_e64 v8, null, s7, v8, vcc_lo
	s_load_dwordx2 s[8:9], s[8:9], 0x0
	global_load_dword v4, v[7:8], off
	v_max_f32_e32 v7, v0, v0
	s_waitcnt lgkmcnt(0)
	v_max_f32_e64 v8, s8, s8
	v_max_f32_e32 v7, v7, v8
	v_sub_f32_e32 v8, s8, v7
	v_sub_f32_e32 v0, v0, v7
	v_mul_f32_e32 v9, 0x3fb8aa3b, v8
	v_mul_f32_e32 v12, 0x3fb8aa3b, v0
	v_cmp_ngt_f32_e32 vcc_lo, 0xc2ce8ed0, v8
	v_fma_f32 v10, 0x3fb8aa3b, v8, -v9
	v_rndne_f32_e32 v11, v9
	v_fma_f32 v13, 0x3fb8aa3b, v0, -v12
	v_rndne_f32_e32 v14, v12
	v_fmac_f32_e32 v10, 0x32a5705f, v8
	v_sub_f32_e32 v9, v9, v11
	v_fmac_f32_e32 v13, 0x32a5705f, v0
	v_cvt_i32_f32_e32 v11, v11
	v_add_f32_e32 v9, v9, v10
	v_sub_f32_e32 v10, v12, v14
	v_exp_f32_e32 v9, v9
	v_add_f32_e32 v10, v10, v13
	v_exp_f32_e32 v10, v10
	v_ldexp_f32 v9, v9, v11
	v_cvt_i32_f32_e32 v11, v14
	v_cndmask_b32_e32 v9, 0, v9, vcc_lo
	v_cmp_nlt_f32_e32 vcc_lo, 0x42b17218, v8
	v_ldexp_f32 v10, v10, v11
	v_mov_b32_e32 v11, v6
	v_cndmask_b32_e32 v9, 0x7f800000, v9, vcc_lo
	v_cmp_ngt_f32_e32 vcc_lo, 0xc2ce8ed0, v0
	v_cndmask_b32_e32 v10, 0, v10, vcc_lo
	v_cmp_le_f32_e32 vcc_lo, 0xc1a00000, v8
	v_cndmask_b32_e32 v8, 0, v9, vcc_lo
	v_cmp_nlt_f32_e32 vcc_lo, 0x42b17218, v0
	s_waitcnt vmcnt(1)
	v_mov_b32_e32 v9, v5
	v_cndmask_b32_e32 v5, 0x7f800000, v10, vcc_lo
	v_mul_f32_e32 v10, s9, v8
	v_cmp_le_f32_e32 vcc_lo, 0xc1a00000, v0
	v_mov_b32_e32 v0, v7
	v_mov_b32_e32 v6, v10
	v_cndmask_b32_e32 v12, 0, v5, vcc_lo
	v_fmac_f32_e32 v6, v11, v12
	s_waitcnt vmcnt(0)
	v_mul_f32_e32 v5, v4, v8
	v_fmac_f32_e32 v5, v9, v12
	s_cbranch_scc0 .LBB11_3
	s_branch .LBB11_5
.LBB11_4:
	s_waitcnt lgkmcnt(0)
	v_mov_b32_e32 v6, s10
.LBB11_5:
	s_waitcnt vmcnt(0)
	v_div_scale_f32 v0, null, v6, v6, v5
	v_rcp_f32_e32 v3, v0
	v_fma_f32 v4, -v0, v3, 1.0
	v_fmac_f32_e32 v3, v4, v3
	v_div_scale_f32 v4, vcc_lo, v5, v6, v5
	v_mul_f32_e32 v7, v4, v3
	v_fma_f32 v8, -v0, v7, v4
	v_fmac_f32_e32 v7, v8, v3
	v_fma_f32 v0, -v0, v7, v4
	v_div_fmas_f32 v0, v0, v3, v7
	v_div_fixup_f32 v0, v0, v6, v5
	global_store_dword v[1:2], v0, off
.LBB11_6:
	s_endpgm
	.section	.rodata,"a",@progbits
	.p2align	6, 0x0
	.amdhsa_kernel _ZL33flash_attn_stream_k_fixup_uniformILi64ELi2ELi1EEvPfPK15HIP_vector_typeIfLj2EEiiiiiiS1_IjLj3EES5_S5_
		.amdhsa_group_segment_fixed_size 0
		.amdhsa_private_segment_fixed_size 0
		.amdhsa_kernarg_size 76
		.amdhsa_user_sgpr_count 6
		.amdhsa_user_sgpr_private_segment_buffer 1
		.amdhsa_user_sgpr_dispatch_ptr 0
		.amdhsa_user_sgpr_queue_ptr 0
		.amdhsa_user_sgpr_kernarg_segment_ptr 1
		.amdhsa_user_sgpr_dispatch_id 0
		.amdhsa_user_sgpr_flat_scratch_init 0
		.amdhsa_user_sgpr_private_segment_size 0
		.amdhsa_wavefront_size32 1
		.amdhsa_uses_dynamic_stack 0
		.amdhsa_system_sgpr_private_segment_wavefront_offset 0
		.amdhsa_system_sgpr_workgroup_id_x 1
		.amdhsa_system_sgpr_workgroup_id_y 1
		.amdhsa_system_sgpr_workgroup_id_z 1
		.amdhsa_system_sgpr_workgroup_info 0
		.amdhsa_system_vgpr_workitem_id 0
		.amdhsa_next_free_vgpr 15
		.amdhsa_next_free_sgpr 24
		.amdhsa_reserve_vcc 1
		.amdhsa_reserve_flat_scratch 0
		.amdhsa_float_round_mode_32 0
		.amdhsa_float_round_mode_16_64 0
		.amdhsa_float_denorm_mode_32 3
		.amdhsa_float_denorm_mode_16_64 3
		.amdhsa_dx10_clamp 1
		.amdhsa_ieee_mode 1
		.amdhsa_fp16_overflow 0
		.amdhsa_workgroup_processor_mode 1
		.amdhsa_memory_ordered 1
		.amdhsa_forward_progress 1
		.amdhsa_shared_vgpr_count 0
		.amdhsa_exception_fp_ieee_invalid_op 0
		.amdhsa_exception_fp_denorm_src 0
		.amdhsa_exception_fp_ieee_div_zero 0
		.amdhsa_exception_fp_ieee_overflow 0
		.amdhsa_exception_fp_ieee_underflow 0
		.amdhsa_exception_fp_ieee_inexact 0
		.amdhsa_exception_int_div_zero 0
	.end_amdhsa_kernel
	.section	.text._ZL33flash_attn_stream_k_fixup_uniformILi64ELi2ELi1EEvPfPK15HIP_vector_typeIfLj2EEiiiiiiS1_IjLj3EES5_S5_,"axG",@progbits,_ZL33flash_attn_stream_k_fixup_uniformILi64ELi2ELi1EEvPfPK15HIP_vector_typeIfLj2EEiiiiiiS1_IjLj3EES5_S5_,comdat
.Lfunc_end11:
	.size	_ZL33flash_attn_stream_k_fixup_uniformILi64ELi2ELi1EEvPfPK15HIP_vector_typeIfLj2EEiiiiiiS1_IjLj3EES5_S5_, .Lfunc_end11-_ZL33flash_attn_stream_k_fixup_uniformILi64ELi2ELi1EEvPfPK15HIP_vector_typeIfLj2EEiiiiiiS1_IjLj3EES5_S5_
                                        ; -- End function
	.set _ZL33flash_attn_stream_k_fixup_uniformILi64ELi2ELi1EEvPfPK15HIP_vector_typeIfLj2EEiiiiiiS1_IjLj3EES5_S5_.num_vgpr, 15
	.set _ZL33flash_attn_stream_k_fixup_uniformILi64ELi2ELi1EEvPfPK15HIP_vector_typeIfLj2EEiiiiiiS1_IjLj3EES5_S5_.num_agpr, 0
	.set _ZL33flash_attn_stream_k_fixup_uniformILi64ELi2ELi1EEvPfPK15HIP_vector_typeIfLj2EEiiiiiiS1_IjLj3EES5_S5_.numbered_sgpr, 24
	.set _ZL33flash_attn_stream_k_fixup_uniformILi64ELi2ELi1EEvPfPK15HIP_vector_typeIfLj2EEiiiiiiS1_IjLj3EES5_S5_.num_named_barrier, 0
	.set _ZL33flash_attn_stream_k_fixup_uniformILi64ELi2ELi1EEvPfPK15HIP_vector_typeIfLj2EEiiiiiiS1_IjLj3EES5_S5_.private_seg_size, 0
	.set _ZL33flash_attn_stream_k_fixup_uniformILi64ELi2ELi1EEvPfPK15HIP_vector_typeIfLj2EEiiiiiiS1_IjLj3EES5_S5_.uses_vcc, 1
	.set _ZL33flash_attn_stream_k_fixup_uniformILi64ELi2ELi1EEvPfPK15HIP_vector_typeIfLj2EEiiiiiiS1_IjLj3EES5_S5_.uses_flat_scratch, 0
	.set _ZL33flash_attn_stream_k_fixup_uniformILi64ELi2ELi1EEvPfPK15HIP_vector_typeIfLj2EEiiiiiiS1_IjLj3EES5_S5_.has_dyn_sized_stack, 0
	.set _ZL33flash_attn_stream_k_fixup_uniformILi64ELi2ELi1EEvPfPK15HIP_vector_typeIfLj2EEiiiiiiS1_IjLj3EES5_S5_.has_recursion, 0
	.set _ZL33flash_attn_stream_k_fixup_uniformILi64ELi2ELi1EEvPfPK15HIP_vector_typeIfLj2EEiiiiiiS1_IjLj3EES5_S5_.has_indirect_call, 0
	.section	.AMDGPU.csdata,"",@progbits
; Kernel info:
; codeLenInByte = 828
; TotalNumSgprs: 26
; NumVgprs: 15
; ScratchSize: 0
; MemoryBound: 0
; FloatMode: 240
; IeeeMode: 1
; LDSByteSize: 0 bytes/workgroup (compile time only)
; SGPRBlocks: 0
; VGPRBlocks: 1
; NumSGPRsForWavesPerEU: 26
; NumVGPRsForWavesPerEU: 15
; Occupancy: 16
; WaveLimiterHint : 0
; COMPUTE_PGM_RSRC2:SCRATCH_EN: 0
; COMPUTE_PGM_RSRC2:USER_SGPR: 6
; COMPUTE_PGM_RSRC2:TRAP_HANDLER: 0
; COMPUTE_PGM_RSRC2:TGID_X_EN: 1
; COMPUTE_PGM_RSRC2:TGID_Y_EN: 1
; COMPUTE_PGM_RSRC2:TGID_Z_EN: 1
; COMPUTE_PGM_RSRC2:TIDIG_COMP_CNT: 0
	.section	.text._ZL33flash_attn_stream_k_fixup_generalILi64ELi2ELi1EEvPfPK15HIP_vector_typeIfLj2EEiiiiS1_IjLj3EES5_S5_S5_,"axG",@progbits,_ZL33flash_attn_stream_k_fixup_generalILi64ELi2ELi1EEvPfPK15HIP_vector_typeIfLj2EEiiiiS1_IjLj3EES5_S5_S5_,comdat
	.globl	_ZL33flash_attn_stream_k_fixup_generalILi64ELi2ELi1EEvPfPK15HIP_vector_typeIfLj2EEiiiiS1_IjLj3EES5_S5_S5_ ; -- Begin function _ZL33flash_attn_stream_k_fixup_generalILi64ELi2ELi1EEvPfPK15HIP_vector_typeIfLj2EEiiiiS1_IjLj3EES5_S5_S5_
	.p2align	8
	.type	_ZL33flash_attn_stream_k_fixup_generalILi64ELi2ELi1EEvPfPK15HIP_vector_typeIfLj2EEiiiiS1_IjLj3EES5_S5_S5_,@function
_ZL33flash_attn_stream_k_fixup_generalILi64ELi2ELi1EEvPfPK15HIP_vector_typeIfLj2EEiiiiS1_IjLj3EES5_S5_S5_: ; @_ZL33flash_attn_stream_k_fixup_generalILi64ELi2ELi1EEvPfPK15HIP_vector_typeIfLj2EEiiiiS1_IjLj3EES5_S5_S5_
; %bb.0:
	s_clause 0x1
	s_load_dwordx4 s[0:3], s[4:5], 0x10
	s_load_dword s9, s[4:5], 0x50
	s_mov_b32 s16, 0
	s_waitcnt lgkmcnt(0)
	s_mul_hi_i32 s17, s3, s6
	s_mul_i32 s18, s3, s6
	s_cmp_lg_u64 s[16:17], 0
	s_cbranch_scc0 .LBB12_21
; %bb.1:
	s_add_u32 s10, s9, 0
	s_addc_u32 s11, 0, 0
	s_xor_b64 s[10:11], s[10:11], 0
	v_cvt_f32_u32_e32 v1, s10
	v_cvt_f32_u32_e32 v2, s11
	s_sub_u32 s14, 0, s10
	s_subb_u32 s15, 0, s11
	v_fmamk_f32 v1, v2, 0x4f800000, v1
	v_rcp_f32_e32 v1, v1
	v_mul_f32_e32 v1, 0x5f7ffffc, v1
	v_mul_f32_e32 v2, 0x2f800000, v1
	v_trunc_f32_e32 v2, v2
	v_fmamk_f32 v1, v2, 0xcf800000, v1
	v_cvt_u32_f32_e32 v2, v2
	v_cvt_u32_f32_e32 v1, v1
	v_readfirstlane_b32 s12, v2
	v_readfirstlane_b32 s13, v1
	s_mul_i32 s19, s14, s12
	s_mul_hi_u32 s21, s14, s13
	s_mul_i32 s20, s15, s13
	s_add_i32 s19, s21, s19
	s_mul_i32 s22, s14, s13
	s_add_i32 s19, s19, s20
	s_mul_hi_u32 s21, s13, s22
	s_mul_i32 s24, s13, s19
	s_mul_hi_u32 s23, s12, s22
	s_mul_i32 s20, s12, s22
	s_mul_hi_u32 s22, s13, s19
	s_add_u32 s21, s21, s24
	s_addc_u32 s22, 0, s22
	s_mul_hi_u32 s25, s12, s19
	s_add_u32 s20, s21, s20
	s_mul_i32 s19, s12, s19
	s_addc_u32 s20, s22, s23
	s_addc_u32 s21, s25, 0
	s_add_u32 s19, s20, s19
	s_addc_u32 s20, 0, s21
	s_add_u32 s13, s13, s19
	s_cselect_b32 s19, -1, 0
	s_mul_hi_u32 s21, s14, s13
	s_cmp_lg_u32 s19, 0
	s_mul_i32 s19, s14, s13
	s_addc_u32 s12, s12, s20
	s_mul_i32 s15, s15, s13
	s_mul_i32 s14, s14, s12
	s_mul_hi_u32 s20, s13, s19
	s_add_i32 s14, s21, s14
	s_mul_hi_u32 s21, s12, s19
	s_add_i32 s14, s14, s15
	s_mul_i32 s15, s12, s19
	s_mul_i32 s23, s13, s14
	s_mul_hi_u32 s22, s13, s14
	s_add_u32 s20, s20, s23
	s_addc_u32 s22, 0, s22
	s_mul_hi_u32 s19, s12, s14
	s_add_u32 s15, s20, s15
	s_mul_i32 s14, s12, s14
	s_addc_u32 s15, s22, s21
	s_addc_u32 s19, s19, 0
	s_add_u32 s14, s15, s14
	s_addc_u32 s15, 0, s19
	s_add_u32 s19, s13, s14
	s_cselect_b32 s13, -1, 0
	s_cmp_lg_u32 s13, 0
	s_addc_u32 s20, s12, s15
	s_ashr_i32 s12, s17, 31
	s_add_u32 s14, s18, s12
	s_mov_b32 s13, s12
	s_addc_u32 s15, s17, s12
	s_xor_b64 s[14:15], s[14:15], s[12:13]
	s_mul_i32 s21, s14, s20
	s_mul_hi_u32 s22, s14, s19
	s_mul_hi_u32 s17, s14, s20
	;; [unrolled: 1-line block ×3, first 2 shown]
	s_mul_i32 s19, s15, s19
	s_add_u32 s21, s22, s21
	s_addc_u32 s17, 0, s17
	s_mul_hi_u32 s23, s15, s20
	s_add_u32 s19, s21, s19
	s_mul_i32 s20, s15, s20
	s_addc_u32 s17, s17, s24
	s_addc_u32 s19, s23, 0
	s_add_u32 s17, s17, s20
	s_addc_u32 s19, 0, s19
	s_mul_hi_u32 s20, s10, s17
	s_mul_i32 s21, s10, s19
	s_mul_i32 s22, s11, s17
	s_add_i32 s20, s20, s21
	s_mul_i32 s21, s10, s17
	s_add_i32 s20, s20, s22
	s_sub_i32 s22, s15, s20
	s_sub_u32 s14, s14, s21
	s_cselect_b32 s21, -1, 0
	s_cmp_lg_u32 s21, 0
	s_subb_u32 s22, s22, s11
	s_sub_u32 s23, s14, s10
	s_cselect_b32 s24, -1, 0
	s_cmp_lg_u32 s24, 0
	s_subb_u32 s22, s22, 0
	s_cmp_ge_u32 s22, s11
	s_cselect_b32 s24, -1, 0
	s_cmp_ge_u32 s23, s10
	s_cselect_b32 s23, -1, 0
	s_cmp_eq_u32 s22, s11
	s_cselect_b32 s22, s23, s24
	s_add_u32 s23, s17, 1
	s_addc_u32 s24, s19, 0
	s_add_u32 s25, s17, 2
	s_addc_u32 s26, s19, 0
	s_cmp_lg_u32 s22, 0
	s_cselect_b32 s22, s25, s23
	s_cselect_b32 s23, s26, s24
	s_cmp_lg_u32 s21, 0
	s_subb_u32 s15, s15, s20
	s_cmp_ge_u32 s15, s11
	s_cselect_b32 s20, -1, 0
	s_cmp_ge_u32 s14, s10
	s_cselect_b32 s10, -1, 0
	s_cmp_eq_u32 s15, s11
	s_cselect_b32 s10, s10, s20
	s_cmp_lg_u32 s10, 0
	s_cselect_b32 s11, s23, s19
	s_cselect_b32 s10, s22, s17
	s_xor_b64 s[12:13], s[12:13], 0
	s_xor_b64 s[10:11], s[10:11], s[12:13]
	s_sub_u32 s10, s10, s12
	s_load_dwordx4 s[12:15], s[4:5], 0x44
	s_andn2_b32 vcc_lo, exec_lo, s16
	s_cbranch_vccnz .LBB12_3
.LBB12_2:
	v_cvt_f32_u32_e32 v1, s9
	s_sub_i32 s11, 0, s9
	v_rcp_iflag_f32_e32 v1, v1
	v_mul_f32_e32 v1, 0x4f7ffffe, v1
	v_cvt_u32_f32_e32 v1, v1
	v_readfirstlane_b32 s10, v1
	s_mul_i32 s11, s11, s10
	s_mul_hi_u32 s11, s10, s11
	s_add_i32 s10, s10, s11
	s_mul_hi_u32 s10, s18, s10
	s_mul_i32 s11, s10, s9
	s_waitcnt lgkmcnt(0)
	s_add_i32 s15, s10, 1
	s_sub_i32 s11, s18, s11
	s_sub_i32 s16, s11, s9
	s_cmp_ge_u32 s11, s9
	s_cselect_b32 s10, s15, s10
	s_cselect_b32 s11, s16, s11
	s_add_i32 s15, s10, 1
	s_cmp_ge_u32 s11, s9
	s_cselect_b32 s10, s15, s10
.LBB12_3:
	s_add_i32 s11, s6, 1
	s_mov_b32 s16, 0
	s_mul_hi_i32 s17, s3, s11
	s_mul_i32 s11, s3, s11
	s_cmp_lg_u64 s[16:17], 0
	s_cbranch_scc0 .LBB12_22
; %bb.4:
	s_add_u32 s18, s9, 0
	s_addc_u32 s19, 0, 0
	s_xor_b64 s[18:19], s[18:19], 0
	v_cvt_f32_u32_e32 v1, s18
	v_cvt_f32_u32_e32 v2, s19
	s_sub_u32 s21, 0, s18
	s_subb_u32 s22, 0, s19
	v_fmamk_f32 v1, v2, 0x4f800000, v1
	v_rcp_f32_e32 v1, v1
	v_mul_f32_e32 v1, 0x5f7ffffc, v1
	v_mul_f32_e32 v2, 0x2f800000, v1
	v_trunc_f32_e32 v2, v2
	v_fmamk_f32 v1, v2, 0xcf800000, v1
	v_cvt_u32_f32_e32 v2, v2
	v_cvt_u32_f32_e32 v1, v1
	s_waitcnt lgkmcnt(0)
	v_readfirstlane_b32 s15, v2
	v_readfirstlane_b32 s20, v1
	s_mul_i32 s23, s21, s15
	s_mul_hi_u32 s25, s21, s20
	s_mul_i32 s24, s22, s20
	s_add_i32 s23, s25, s23
	s_mul_i32 s26, s21, s20
	s_add_i32 s23, s23, s24
	s_mul_hi_u32 s25, s20, s26
	s_mul_i32 s28, s20, s23
	s_mul_hi_u32 s27, s15, s26
	s_mul_i32 s24, s15, s26
	s_mul_hi_u32 s26, s20, s23
	s_add_u32 s25, s25, s28
	s_addc_u32 s26, 0, s26
	s_mul_hi_u32 s29, s15, s23
	s_add_u32 s24, s25, s24
	s_mul_i32 s23, s15, s23
	s_addc_u32 s24, s26, s27
	s_addc_u32 s25, s29, 0
	s_add_u32 s23, s24, s23
	s_addc_u32 s24, 0, s25
	s_add_u32 s20, s20, s23
	s_cselect_b32 s23, -1, 0
	s_mul_hi_u32 s25, s21, s20
	s_cmp_lg_u32 s23, 0
	s_mul_i32 s23, s21, s20
	s_addc_u32 s15, s15, s24
	s_mul_i32 s22, s22, s20
	s_mul_i32 s21, s21, s15
	s_mul_hi_u32 s24, s20, s23
	s_add_i32 s21, s25, s21
	s_mul_hi_u32 s25, s15, s23
	s_add_i32 s21, s21, s22
	s_mul_i32 s22, s15, s23
	s_mul_i32 s27, s20, s21
	s_mul_hi_u32 s26, s20, s21
	s_add_u32 s24, s24, s27
	s_addc_u32 s26, 0, s26
	s_mul_hi_u32 s23, s15, s21
	s_add_u32 s22, s24, s22
	s_mul_i32 s21, s15, s21
	s_addc_u32 s22, s26, s25
	s_addc_u32 s23, s23, 0
	s_add_u32 s21, s22, s21
	s_addc_u32 s22, 0, s23
	s_add_u32 s24, s20, s21
	s_cselect_b32 s20, -1, 0
	s_cmp_lg_u32 s20, 0
	s_addc_u32 s15, s15, s22
	s_ashr_i32 s20, s17, 31
	s_add_u32 s22, s11, s20
	s_mov_b32 s21, s20
	s_addc_u32 s23, s17, s20
	s_xor_b64 s[22:23], s[22:23], s[20:21]
	s_mul_i32 s25, s22, s15
	s_mul_hi_u32 s26, s22, s24
	s_mul_hi_u32 s17, s22, s15
	;; [unrolled: 1-line block ×3, first 2 shown]
	s_mul_i32 s24, s23, s24
	s_add_u32 s25, s26, s25
	s_addc_u32 s17, 0, s17
	s_mul_hi_u32 s27, s23, s15
	s_add_u32 s24, s25, s24
	s_mul_i32 s15, s23, s15
	s_addc_u32 s17, s17, s28
	s_addc_u32 s24, s27, 0
	s_add_u32 s15, s17, s15
	s_addc_u32 s17, 0, s24
	s_mul_hi_u32 s24, s18, s15
	s_mul_i32 s25, s18, s17
	s_mul_i32 s26, s19, s15
	s_add_i32 s24, s24, s25
	s_mul_i32 s25, s18, s15
	s_add_i32 s24, s24, s26
	s_sub_i32 s26, s23, s24
	s_sub_u32 s22, s22, s25
	s_cselect_b32 s25, -1, 0
	s_cmp_lg_u32 s25, 0
	s_subb_u32 s26, s26, s19
	s_sub_u32 s27, s22, s18
	s_cselect_b32 s28, -1, 0
	s_cmp_lg_u32 s28, 0
	s_subb_u32 s26, s26, 0
	s_cmp_ge_u32 s26, s19
	s_cselect_b32 s28, -1, 0
	s_cmp_ge_u32 s27, s18
	s_cselect_b32 s27, -1, 0
	s_cmp_eq_u32 s26, s19
	s_cselect_b32 s26, s27, s28
	s_add_u32 s27, s15, 1
	s_addc_u32 s28, s17, 0
	s_add_u32 s29, s15, 2
	s_addc_u32 s30, s17, 0
	s_cmp_lg_u32 s26, 0
	s_cselect_b32 s26, s29, s27
	s_cselect_b32 s27, s30, s28
	s_cmp_lg_u32 s25, 0
	s_subb_u32 s23, s23, s24
	s_cmp_ge_u32 s23, s19
	s_cselect_b32 s24, -1, 0
	s_cmp_ge_u32 s22, s18
	s_cselect_b32 s18, -1, 0
	s_cmp_eq_u32 s23, s19
	s_cselect_b32 s18, s18, s24
	s_cmp_lg_u32 s18, 0
	s_cselect_b32 s19, s27, s17
	s_cselect_b32 s18, s26, s15
	s_xor_b64 s[20:21], s[20:21], 0
	s_xor_b64 s[18:19], s[18:19], s[20:21]
	s_sub_u32 s18, s18, s20
	s_andn2_b32 vcc_lo, exec_lo, s16
	s_cbranch_vccnz .LBB12_6
.LBB12_5:
	v_cvt_f32_u32_e32 v1, s9
	s_sub_i32 s16, 0, s9
	v_rcp_iflag_f32_e32 v1, v1
	v_mul_f32_e32 v1, 0x4f7ffffe, v1
	v_cvt_u32_f32_e32 v1, v1
	s_waitcnt lgkmcnt(0)
	v_readfirstlane_b32 s15, v1
	s_mul_i32 s16, s16, s15
	s_mul_hi_u32 s16, s15, s16
	s_add_i32 s15, s15, s16
	s_mul_hi_u32 s15, s11, s15
	s_mul_i32 s16, s15, s9
	s_sub_i32 s11, s11, s16
	s_add_i32 s16, s15, 1
	s_sub_i32 s17, s11, s9
	s_cmp_ge_u32 s11, s9
	s_cselect_b32 s15, s16, s15
	s_cselect_b32 s11, s17, s11
	s_add_i32 s16, s15, 1
	s_cmp_ge_u32 s11, s9
	s_cselect_b32 s18, s16, s15
.LBB12_6:
	s_cmp_eq_u32 s10, s18
	s_waitcnt lgkmcnt(0)
	s_mul_hi_u32 s11, s10, s12
	s_cselect_b32 s15, -1, 0
	s_add_i32 s11, s11, s10
	s_lshr_b32 s11, s11, s13
	s_mul_i32 s16, s11, s14
	s_cmp_eq_u32 s16, s10
	s_mul_hi_u32 s16, s18, s12
	s_cselect_b32 s17, -1, 0
	s_add_i32 s16, s16, s18
	s_lshr_b32 s16, s16, s13
	s_cmp_eq_u32 s11, s16
	s_mul_i32 s16, s16, s14
	s_cselect_b32 s19, -1, 0
	s_cmp_lg_u32 s16, s18
	s_cselect_b32 s16, -1, 0
	s_or_b32 s15, s15, s17
	s_and_b32 s16, s19, s16
	s_or_b32 s15, s15, s16
	s_and_b32 vcc_lo, exec_lo, s15
	s_cbranch_vccnz .LBB12_24
; %bb.7:
	s_load_dwordx8 s[20:27], s[4:5], 0x20
	s_waitcnt lgkmcnt(0)
	s_mul_hi_u32 s15, s10, s20
	s_add_i32 s15, s15, s10
	s_lshr_b32 s20, s15, s21
	s_load_dword s15, s[4:5], 0x40
	s_mul_i32 s16, s20, s22
	s_sub_i32 s16, s10, s16
	s_mul_hi_u32 s17, s16, s23
	s_add_i32 s17, s16, s17
	s_lshr_b32 s22, s17, s24
	s_mul_i32 s17, s22, s25
	s_sub_i32 s16, s16, s17
	s_mul_hi_u32 s17, s16, s26
	s_add_i32 s17, s16, s17
	s_lshr_b32 s23, s17, s27
	s_waitcnt lgkmcnt(0)
	s_mul_i32 s15, s23, s15
	s_sub_i32 s15, s16, s15
	s_mul_hi_u32 s16, s15, s12
	s_add_i32 s15, s15, s16
	s_lshr_b32 s24, s15, s13
	s_lshl_b32 s15, s24, 1
	s_add_i32 s15, s15, s7
	s_cmp_lt_i32 s15, s0
	s_cselect_b32 s15, -1, 0
	s_add_i32 s16, s23, s8
	s_cmp_lt_i32 s16, s2
	s_cselect_b32 s16, -1, 0
	s_and_b32 s15, s15, s16
	s_andn2_b32 vcc_lo, exec_lo, s15
	s_cbranch_vccnz .LBB12_24
; %bb.8:
	s_load_dwordx4 s[16:19], s[4:5], 0x0
	s_mov_b32 s4, 0
	s_lshl_b32 s26, s9, 3
	s_mov_b32 s27, s4
	s_add_i32 s15, s7, s8
	s_lshl_b64 s[26:27], s[26:27], 2
	s_mul_i32 s0, s20, s0
	s_mul_i32 s22, s22, s2
	v_cvt_f32_u32_e32 v4, s9
	v_rcp_iflag_f32_e32 v4, v4
	s_waitcnt lgkmcnt(0)
	s_add_u32 s20, s18, s26
	s_addc_u32 s21, s19, s27
	s_add_i32 s0, s0, s7
	v_mul_f32_e32 v4, 0x4f7ffffe, v4
	s_mul_i32 s0, s0, s1
	s_mul_i32 s1, s1, s24
	s_add_i32 s0, s0, s8
	s_lshl_b32 s1, s1, 7
	s_add_i32 s0, s0, s22
	v_cvt_u32_f32_e32 v4, v4
	s_add_i32 s0, s0, s23
	s_lshl_b32 s0, s0, 6
	s_add_i32 s1, s1, s0
	s_lshl_b32 s0, s6, 1
	v_or_b32_e32 v1, s1, v0
	s_add_i32 s0, s0, s15
	v_lshl_or_b32 v0, s15, 6, v0
	s_ashr_i32 s1, s0, 31
	v_ashrrev_i32_e32 v2, 31, v1
	s_lshl_b64 s[0:1], s[0:1], 3
	s_add_u32 s0, s18, s0
	s_addc_u32 s1, s19, s1
	v_lshlrev_b64 v[1:2], 2, v[1:2]
	s_load_dwordx2 s[0:1], s[0:1], 0x0
	s_add_i32 s8, s6, -1
	s_sub_i32 s2, 0, s9
	v_add_co_u32 v1, vcc_lo, s16, v1
	v_add_co_ci_u32_e64 v2, null, s17, v2, vcc_lo
	global_load_dword v3, v[1:2], off
	s_waitcnt lgkmcnt(0)
	v_mov_b32_e32 v5, s1
	v_mov_b32_e32 v6, s0
.LBB12_9:                               ; =>This Inner Loop Header: Depth=1
	s_mul_hi_i32 s5, s8, s3
	s_mul_i32 s6, s8, s3
	s_cmp_lg_u64 s[4:5], 0
	s_mov_b32 s7, -1
                                        ; implicit-def: $sgpr0_sgpr1
	s_cbranch_scc0 .LBB12_11
; %bb.10:                               ;   in Loop: Header=BB12_9 Depth=1
	s_add_u32 s0, s9, 0
	s_addc_u32 s1, 0, 0
	s_xor_b64 s[0:1], s[0:1], 0
	v_cvt_f32_u32_e32 v7, s0
	v_cvt_f32_u32_e32 v8, s1
	s_sub_u32 s17, 0, s0
	s_subb_u32 s22, 0, s1
	v_fmac_f32_e32 v7, 0x4f800000, v8
	v_rcp_f32_e32 v7, v7
	v_mul_f32_e32 v7, 0x5f7ffffc, v7
	v_mul_f32_e32 v8, 0x2f800000, v7
	v_trunc_f32_e32 v8, v8
	v_fmac_f32_e32 v7, 0xcf800000, v8
	v_cvt_u32_f32_e32 v8, v8
	v_cvt_u32_f32_e32 v7, v7
	v_readfirstlane_b32 s7, v8
	v_readfirstlane_b32 s16, v7
	s_mul_i32 s23, s17, s7
	s_mul_hi_u32 s25, s17, s16
	s_mul_i32 s24, s22, s16
	s_add_i32 s23, s25, s23
	s_mul_i32 s26, s17, s16
	s_add_i32 s23, s23, s24
	s_mul_hi_u32 s25, s16, s26
	s_mul_i32 s28, s16, s23
	s_mul_hi_u32 s27, s7, s26
	s_mul_i32 s24, s7, s26
	s_mul_hi_u32 s26, s16, s23
	s_add_u32 s25, s25, s28
	s_addc_u32 s26, 0, s26
	s_mul_hi_u32 s29, s7, s23
	s_add_u32 s24, s25, s24
	s_mul_i32 s23, s7, s23
	s_addc_u32 s24, s26, s27
	s_addc_u32 s25, s29, 0
	s_add_u32 s23, s24, s23
	s_addc_u32 s24, 0, s25
	s_add_u32 s16, s16, s23
	s_cselect_b32 s23, -1, 0
	s_mul_hi_u32 s25, s17, s16
	s_cmp_lg_u32 s23, 0
	s_mul_i32 s23, s17, s16
	s_addc_u32 s7, s7, s24
	s_mul_i32 s22, s22, s16
	s_mul_i32 s17, s17, s7
	s_mul_hi_u32 s24, s16, s23
	s_add_i32 s17, s25, s17
	s_mul_hi_u32 s25, s7, s23
	s_add_i32 s17, s17, s22
	s_mul_i32 s22, s7, s23
	s_mul_i32 s27, s16, s17
	s_mul_hi_u32 s26, s16, s17
	s_add_u32 s24, s24, s27
	s_addc_u32 s26, 0, s26
	s_mul_hi_u32 s23, s7, s17
	s_add_u32 s22, s24, s22
	s_mul_i32 s17, s7, s17
	s_addc_u32 s22, s26, s25
	s_addc_u32 s23, s23, 0
	s_add_u32 s17, s22, s17
	s_addc_u32 s22, 0, s23
	s_add_u32 s24, s16, s17
	s_cselect_b32 s16, -1, 0
	s_cmp_lg_u32 s16, 0
	s_addc_u32 s7, s7, s22
	s_ashr_i32 s16, s5, 31
	s_add_u32 s22, s6, s16
	s_mov_b32 s17, s16
	s_addc_u32 s23, s5, s16
	s_xor_b64 s[22:23], s[22:23], s[16:17]
	s_mul_i32 s25, s22, s7
	s_mul_hi_u32 s26, s22, s24
	s_mul_hi_u32 s5, s22, s7
	;; [unrolled: 1-line block ×3, first 2 shown]
	s_mul_i32 s24, s23, s24
	s_add_u32 s25, s26, s25
	s_addc_u32 s5, 0, s5
	s_mul_hi_u32 s27, s23, s7
	s_add_u32 s24, s25, s24
	s_mul_i32 s7, s23, s7
	s_addc_u32 s5, s5, s28
	s_addc_u32 s24, s27, 0
	s_add_u32 s5, s5, s7
	s_addc_u32 s7, 0, s24
	s_mul_hi_u32 s24, s0, s5
	s_mul_i32 s25, s0, s7
	s_mul_i32 s26, s1, s5
	s_add_i32 s24, s24, s25
	s_mul_i32 s25, s0, s5
	s_add_i32 s24, s24, s26
	s_sub_i32 s26, s23, s24
	s_sub_u32 s22, s22, s25
	s_cselect_b32 s25, -1, 0
	s_cmp_lg_u32 s25, 0
	s_subb_u32 s26, s26, s1
	s_sub_u32 s27, s22, s0
	s_cselect_b32 s28, -1, 0
	s_cmp_lg_u32 s28, 0
	s_subb_u32 s26, s26, 0
	s_cmp_ge_u32 s26, s1
	s_cselect_b32 s28, -1, 0
	s_cmp_ge_u32 s27, s0
	s_cselect_b32 s27, -1, 0
	s_cmp_eq_u32 s26, s1
	s_cselect_b32 s26, s27, s28
	s_add_u32 s27, s5, 1
	s_addc_u32 s28, s7, 0
	s_add_u32 s29, s5, 2
	s_addc_u32 s30, s7, 0
	s_cmp_lg_u32 s26, 0
	s_cselect_b32 s26, s29, s27
	s_cselect_b32 s27, s30, s28
	s_cmp_lg_u32 s25, 0
	s_subb_u32 s23, s23, s24
	s_cmp_ge_u32 s23, s1
	s_cselect_b32 s24, -1, 0
	s_cmp_ge_u32 s22, s0
	s_cselect_b32 s0, -1, 0
	s_cmp_eq_u32 s23, s1
	s_cselect_b32 s0, s0, s24
	s_cmp_lg_u32 s0, 0
	s_cselect_b32 s1, s27, s7
	s_cselect_b32 s0, s26, s5
	s_xor_b64 s[16:17], s[16:17], 0
	s_mov_b32 s7, 0
	s_xor_b64 s[0:1], s[0:1], s[16:17]
	s_sub_u32 s0, s0, s16
.LBB12_11:                              ;   in Loop: Header=BB12_9 Depth=1
	s_andn2_b32 vcc_lo, exec_lo, s7
	s_cbranch_vccnz .LBB12_13
; %bb.12:                               ;   in Loop: Header=BB12_9 Depth=1
	v_readfirstlane_b32 s0, v4
	s_mul_i32 s1, s2, s0
	s_mul_hi_u32 s1, s0, s1
	s_add_i32 s0, s0, s1
	s_mul_hi_u32 s0, s6, s0
	s_mul_i32 s1, s0, s9
	s_add_i32 s5, s0, 1
	s_sub_i32 s1, s6, s1
	s_sub_i32 s6, s1, s9
	s_cmp_ge_u32 s1, s9
	s_cselect_b32 s0, s5, s0
	s_cselect_b32 s1, s6, s1
	s_add_i32 s5, s0, 1
	s_cmp_ge_u32 s1, s9
	s_cselect_b32 s0, s5, s0
.LBB12_13:                              ;   in Loop: Header=BB12_9 Depth=1
	s_cmp_lg_u32 s10, s0
	s_mov_b32 s6, -1
                                        ; implicit-def: $sgpr5
                                        ; implicit-def: $vgpr8
                                        ; implicit-def: $vgpr7
                                        ; implicit-def: $vgpr9
                                        ; implicit-def: $sgpr1
                                        ; implicit-def: $sgpr16
	s_cbranch_scc0 .LBB12_18
; %bb.14:                               ;   in Loop: Header=BB12_9 Depth=1
	s_add_i32 s1, s8, s9
	s_mov_b32 s7, s4
	s_lshl_b32 s1, s1, 1
	s_mov_b32 s16, s10
	s_add_i32 s6, s1, s15
	s_mul_hi_u32 s1, s0, s12
	s_lshl_b64 s[6:7], s[6:7], 3
	s_add_u32 s6, s18, s6
	s_addc_u32 s7, s19, s7
	s_add_i32 s1, s1, s0
	s_lshr_b32 s1, s1, s13
	s_mul_i32 s5, s1, s14
	s_cmp_eq_u32 s5, s0
	s_cselect_b32 s5, -1, 0
	s_cmp_lt_u32 s1, s11
	s_cselect_b32 s1, -1, 0
	s_or_b32 s1, s1, s5
	s_mov_b32 s5, -1
	s_and_b32 vcc_lo, exec_lo, s1
	s_mov_b32 s1, s8
	s_cbranch_vccnz .LBB12_16
; %bb.15:                               ;   in Loop: Header=BB12_9 Depth=1
	s_add_i32 s1, s8, -1
	s_mov_b32 s5, 0
	s_mov_b32 s16, s0
.LBB12_16:                              ;   in Loop: Header=BB12_9 Depth=1
	v_lshl_add_u32 v7, s8, 7, v0
	s_load_dwordx2 s[6:7], s[6:7], 0x0
	v_ashrrev_i32_e32 v8, 31, v7
	v_lshlrev_b64 v[7:8], 2, v[7:8]
	v_add_co_u32 v7, vcc_lo, s20, v7
	v_add_co_ci_u32_e64 v8, null, s21, v8, vcc_lo
	s_waitcnt lgkmcnt(0)
	v_max_f32_e64 v9, s6, s6
	global_load_dword v8, v[7:8], off
	v_max_f32_e32 v7, v6, v6
	v_max_f32_e32 v7, v7, v9
	v_sub_f32_e32 v9, s6, v7
	v_sub_f32_e32 v10, v6, v7
	v_mul_f32_e32 v11, 0x3fb8aa3b, v9
	v_mul_f32_e32 v12, 0x3fb8aa3b, v10
	v_cmp_ngt_f32_e32 vcc_lo, 0xc2ce8ed0, v9
	v_fma_f32 v13, 0x3fb8aa3b, v9, -v11
	v_rndne_f32_e32 v14, v11
	v_fma_f32 v15, 0x3fb8aa3b, v10, -v12
	v_rndne_f32_e32 v16, v12
	v_fmac_f32_e32 v13, 0x32a5705f, v9
	v_sub_f32_e32 v11, v11, v14
	v_fmac_f32_e32 v15, 0x32a5705f, v10
	v_sub_f32_e32 v12, v12, v16
	v_add_f32_e32 v11, v11, v13
	v_cvt_i32_f32_e32 v13, v14
	v_add_f32_e32 v12, v12, v15
	v_cvt_i32_f32_e32 v14, v16
	v_exp_f32_e32 v11, v11
	v_exp_f32_e32 v12, v12
	v_ldexp_f32 v11, v11, v13
	v_ldexp_f32 v12, v12, v14
	v_cndmask_b32_e32 v11, 0, v11, vcc_lo
	v_cmp_ngt_f32_e32 vcc_lo, 0xc2ce8ed0, v10
	v_cndmask_b32_e32 v12, 0, v12, vcc_lo
	v_cmp_nlt_f32_e32 vcc_lo, 0x42b17218, v9
	v_cndmask_b32_e32 v11, 0x7f800000, v11, vcc_lo
	v_cmp_nlt_f32_e32 vcc_lo, 0x42b17218, v10
	v_cndmask_b32_e32 v12, 0x7f800000, v12, vcc_lo
	v_cmp_le_f32_e32 vcc_lo, 0xc1a00000, v9
	v_cndmask_b32_e32 v9, 0, v11, vcc_lo
	v_cmp_le_f32_e32 vcc_lo, 0xc1a00000, v10
	v_cndmask_b32_e32 v10, 0, v12, vcc_lo
	s_waitcnt vmcnt(0)
	v_mul_f32_e32 v8, v8, v9
	v_mul_f32_e32 v9, s7, v9
	v_fmac_f32_e32 v8, v3, v10
	v_fmac_f32_e32 v9, v5, v10
	s_cbranch_execz .LBB12_19
.LBB12_17:                              ;   in Loop: Header=BB12_9 Depth=1
	s_andn2_b32 vcc_lo, exec_lo, s5
	s_cbranch_vccnz .LBB12_20
	s_branch .LBB12_23
.LBB12_18:                              ;   in Loop: Header=BB12_9 Depth=1
	s_andn2_b32 vcc_lo, exec_lo, s6
	s_cbranch_vccnz .LBB12_17
.LBB12_19:                              ;   in Loop: Header=BB12_9 Depth=1
	v_mov_b32_e32 v9, v5
	v_mov_b32_e32 v7, v6
	s_waitcnt vmcnt(0)
	v_mov_b32_e32 v8, v3
	s_add_i32 s1, s8, -1
	s_mov_b32 s16, s10
	s_cbranch_execz .LBB12_23
.LBB12_20:                              ;   in Loop: Header=BB12_9 Depth=1
	v_mov_b32_e32 v5, v9
	v_mov_b32_e32 v6, v7
	s_waitcnt vmcnt(0)
	v_mov_b32_e32 v3, v8
	s_mov_b32 s10, s16
	s_mov_b32 s8, s1
	s_branch .LBB12_9
.LBB12_21:
                                        ; implicit-def: $sgpr10_sgpr11
	s_load_dwordx4 s[12:15], s[4:5], 0x44
	s_branch .LBB12_2
.LBB12_22:
                                        ; implicit-def: $sgpr18_sgpr19
	s_branch .LBB12_5
.LBB12_23:
	v_div_scale_f32 v0, null, v9, v9, v8
	s_waitcnt vmcnt(0)
	v_rcp_f32_e32 v3, v0
	v_fma_f32 v4, -v0, v3, 1.0
	v_fmac_f32_e32 v3, v4, v3
	v_div_scale_f32 v4, vcc_lo, v8, v9, v8
	v_mul_f32_e32 v5, v4, v3
	v_fma_f32 v6, -v0, v5, v4
	v_fmac_f32_e32 v5, v6, v3
	v_fma_f32 v0, -v0, v5, v4
	v_div_fmas_f32 v0, v0, v3, v5
	v_div_fixup_f32 v0, v0, v9, v8
	global_store_dword v[1:2], v0, off
.LBB12_24:
	s_endpgm
	.section	.rodata,"a",@progbits
	.p2align	6, 0x0
	.amdhsa_kernel _ZL33flash_attn_stream_k_fixup_generalILi64ELi2ELi1EEvPfPK15HIP_vector_typeIfLj2EEiiiiS1_IjLj3EES5_S5_S5_
		.amdhsa_group_segment_fixed_size 0
		.amdhsa_private_segment_fixed_size 0
		.amdhsa_kernarg_size 336
		.amdhsa_user_sgpr_count 6
		.amdhsa_user_sgpr_private_segment_buffer 1
		.amdhsa_user_sgpr_dispatch_ptr 0
		.amdhsa_user_sgpr_queue_ptr 0
		.amdhsa_user_sgpr_kernarg_segment_ptr 1
		.amdhsa_user_sgpr_dispatch_id 0
		.amdhsa_user_sgpr_flat_scratch_init 0
		.amdhsa_user_sgpr_private_segment_size 0
		.amdhsa_wavefront_size32 1
		.amdhsa_uses_dynamic_stack 0
		.amdhsa_system_sgpr_private_segment_wavefront_offset 0
		.amdhsa_system_sgpr_workgroup_id_x 1
		.amdhsa_system_sgpr_workgroup_id_y 1
		.amdhsa_system_sgpr_workgroup_id_z 1
		.amdhsa_system_sgpr_workgroup_info 0
		.amdhsa_system_vgpr_workitem_id 0
		.amdhsa_next_free_vgpr 17
		.amdhsa_next_free_sgpr 31
		.amdhsa_reserve_vcc 1
		.amdhsa_reserve_flat_scratch 0
		.amdhsa_float_round_mode_32 0
		.amdhsa_float_round_mode_16_64 0
		.amdhsa_float_denorm_mode_32 3
		.amdhsa_float_denorm_mode_16_64 3
		.amdhsa_dx10_clamp 1
		.amdhsa_ieee_mode 1
		.amdhsa_fp16_overflow 0
		.amdhsa_workgroup_processor_mode 1
		.amdhsa_memory_ordered 1
		.amdhsa_forward_progress 1
		.amdhsa_shared_vgpr_count 0
		.amdhsa_exception_fp_ieee_invalid_op 0
		.amdhsa_exception_fp_denorm_src 0
		.amdhsa_exception_fp_ieee_div_zero 0
		.amdhsa_exception_fp_ieee_overflow 0
		.amdhsa_exception_fp_ieee_underflow 0
		.amdhsa_exception_fp_ieee_inexact 0
		.amdhsa_exception_int_div_zero 0
	.end_amdhsa_kernel
	.section	.text._ZL33flash_attn_stream_k_fixup_generalILi64ELi2ELi1EEvPfPK15HIP_vector_typeIfLj2EEiiiiS1_IjLj3EES5_S5_S5_,"axG",@progbits,_ZL33flash_attn_stream_k_fixup_generalILi64ELi2ELi1EEvPfPK15HIP_vector_typeIfLj2EEiiiiS1_IjLj3EES5_S5_S5_,comdat
.Lfunc_end12:
	.size	_ZL33flash_attn_stream_k_fixup_generalILi64ELi2ELi1EEvPfPK15HIP_vector_typeIfLj2EEiiiiS1_IjLj3EES5_S5_S5_, .Lfunc_end12-_ZL33flash_attn_stream_k_fixup_generalILi64ELi2ELi1EEvPfPK15HIP_vector_typeIfLj2EEiiiiS1_IjLj3EES5_S5_S5_
                                        ; -- End function
	.set _ZL33flash_attn_stream_k_fixup_generalILi64ELi2ELi1EEvPfPK15HIP_vector_typeIfLj2EEiiiiS1_IjLj3EES5_S5_S5_.num_vgpr, 17
	.set _ZL33flash_attn_stream_k_fixup_generalILi64ELi2ELi1EEvPfPK15HIP_vector_typeIfLj2EEiiiiS1_IjLj3EES5_S5_S5_.num_agpr, 0
	.set _ZL33flash_attn_stream_k_fixup_generalILi64ELi2ELi1EEvPfPK15HIP_vector_typeIfLj2EEiiiiS1_IjLj3EES5_S5_S5_.numbered_sgpr, 31
	.set _ZL33flash_attn_stream_k_fixup_generalILi64ELi2ELi1EEvPfPK15HIP_vector_typeIfLj2EEiiiiS1_IjLj3EES5_S5_S5_.num_named_barrier, 0
	.set _ZL33flash_attn_stream_k_fixup_generalILi64ELi2ELi1EEvPfPK15HIP_vector_typeIfLj2EEiiiiS1_IjLj3EES5_S5_S5_.private_seg_size, 0
	.set _ZL33flash_attn_stream_k_fixup_generalILi64ELi2ELi1EEvPfPK15HIP_vector_typeIfLj2EEiiiiS1_IjLj3EES5_S5_S5_.uses_vcc, 1
	.set _ZL33flash_attn_stream_k_fixup_generalILi64ELi2ELi1EEvPfPK15HIP_vector_typeIfLj2EEiiiiS1_IjLj3EES5_S5_S5_.uses_flat_scratch, 0
	.set _ZL33flash_attn_stream_k_fixup_generalILi64ELi2ELi1EEvPfPK15HIP_vector_typeIfLj2EEiiiiS1_IjLj3EES5_S5_S5_.has_dyn_sized_stack, 0
	.set _ZL33flash_attn_stream_k_fixup_generalILi64ELi2ELi1EEvPfPK15HIP_vector_typeIfLj2EEiiiiS1_IjLj3EES5_S5_S5_.has_recursion, 0
	.set _ZL33flash_attn_stream_k_fixup_generalILi64ELi2ELi1EEvPfPK15HIP_vector_typeIfLj2EEiiiiS1_IjLj3EES5_S5_S5_.has_indirect_call, 0
	.section	.AMDGPU.csdata,"",@progbits
; Kernel info:
; codeLenInByte = 2936
; TotalNumSgprs: 33
; NumVgprs: 17
; ScratchSize: 0
; MemoryBound: 0
; FloatMode: 240
; IeeeMode: 1
; LDSByteSize: 0 bytes/workgroup (compile time only)
; SGPRBlocks: 0
; VGPRBlocks: 2
; NumSGPRsForWavesPerEU: 33
; NumVGPRsForWavesPerEU: 17
; Occupancy: 16
; WaveLimiterHint : 0
; COMPUTE_PGM_RSRC2:SCRATCH_EN: 0
; COMPUTE_PGM_RSRC2:USER_SGPR: 6
; COMPUTE_PGM_RSRC2:TRAP_HANDLER: 0
; COMPUTE_PGM_RSRC2:TGID_X_EN: 1
; COMPUTE_PGM_RSRC2:TGID_Y_EN: 1
; COMPUTE_PGM_RSRC2:TGID_Z_EN: 1
; COMPUTE_PGM_RSRC2:TIDIG_COMP_CNT: 0
	.section	.text._ZL18flash_attn_ext_vecILi64ELi2EL9ggml_type2ELS0_8ELb1EEvPKcS2_S2_S2_S2_PKiPfP15HIP_vector_typeIfLj2EEffffjfiS6_IjLj3EEiiiiiiiiiiiliiliiiiil,"axG",@progbits,_ZL18flash_attn_ext_vecILi64ELi2EL9ggml_type2ELS0_8ELb1EEvPKcS2_S2_S2_S2_PKiPfP15HIP_vector_typeIfLj2EEffffjfiS6_IjLj3EEiiiiiiiiiiiliiliiiiil,comdat
	.globl	_ZL18flash_attn_ext_vecILi64ELi2EL9ggml_type2ELS0_8ELb1EEvPKcS2_S2_S2_S2_PKiPfP15HIP_vector_typeIfLj2EEffffjfiS6_IjLj3EEiiiiiiiiiiiliiliiiiil ; -- Begin function _ZL18flash_attn_ext_vecILi64ELi2EL9ggml_type2ELS0_8ELb1EEvPKcS2_S2_S2_S2_PKiPfP15HIP_vector_typeIfLj2EEffffjfiS6_IjLj3EEiiiiiiiiiiiliiliiiiil
	.p2align	8
	.type	_ZL18flash_attn_ext_vecILi64ELi2EL9ggml_type2ELS0_8ELb1EEvPKcS2_S2_S2_S2_PKiPfP15HIP_vector_typeIfLj2EEffffjfiS6_IjLj3EEiiiiiiiiiiiliiliiiiil,@function
_ZL18flash_attn_ext_vecILi64ELi2EL9ggml_type2ELS0_8ELb1EEvPKcS2_S2_S2_S2_PKiPfP15HIP_vector_typeIfLj2EEffffjfiS6_IjLj3EEiiiiiiiiiiiliiliiiiil: ; @_ZL18flash_attn_ext_vecILi64ELi2EL9ggml_type2ELS0_8ELb1EEvPKcS2_S2_S2_S2_PKiPfP15HIP_vector_typeIfLj2EEffffjfiS6_IjLj3EEiiiiiiiiiiiliiliiiiil
; %bb.0:
	s_add_u32 s0, s0, s7
	s_addc_u32 s1, s1, 0
	s_add_u32 s8, s4, 0xd0
	s_addc_u32 s9, s5, 0
	s_getpc_b64 s[4:5]
	s_add_u32 s4, s4, _ZL14no_device_codePKciS0_iS0_@rel32@lo+4
	s_addc_u32 s5, s5, _ZL14no_device_codePKciS0_iS0_@rel32@hi+12
	s_mov_b32 s32, 0
	s_swappc_b64 s[30:31], s[4:5]
	.section	.rodata,"a",@progbits
	.p2align	6, 0x0
	.amdhsa_kernel _ZL18flash_attn_ext_vecILi64ELi2EL9ggml_type2ELS0_8ELb1EEvPKcS2_S2_S2_S2_PKiPfP15HIP_vector_typeIfLj2EEffffjfiS6_IjLj3EEiiiiiiiiiiiliiliiiiil
		.amdhsa_group_segment_fixed_size 0
		.amdhsa_private_segment_fixed_size 16
		.amdhsa_kernarg_size 464
		.amdhsa_user_sgpr_count 6
		.amdhsa_user_sgpr_private_segment_buffer 1
		.amdhsa_user_sgpr_dispatch_ptr 0
		.amdhsa_user_sgpr_queue_ptr 0
		.amdhsa_user_sgpr_kernarg_segment_ptr 1
		.amdhsa_user_sgpr_dispatch_id 0
		.amdhsa_user_sgpr_flat_scratch_init 0
		.amdhsa_user_sgpr_private_segment_size 0
		.amdhsa_wavefront_size32 1
		.amdhsa_uses_dynamic_stack 0
		.amdhsa_system_sgpr_private_segment_wavefront_offset 1
		.amdhsa_system_sgpr_workgroup_id_x 1
		.amdhsa_system_sgpr_workgroup_id_y 0
		.amdhsa_system_sgpr_workgroup_id_z 0
		.amdhsa_system_sgpr_workgroup_info 0
		.amdhsa_system_vgpr_workitem_id 0
		.amdhsa_next_free_vgpr 40
		.amdhsa_next_free_sgpr 34
		.amdhsa_reserve_vcc 1
		.amdhsa_reserve_flat_scratch 0
		.amdhsa_float_round_mode_32 0
		.amdhsa_float_round_mode_16_64 0
		.amdhsa_float_denorm_mode_32 3
		.amdhsa_float_denorm_mode_16_64 3
		.amdhsa_dx10_clamp 1
		.amdhsa_ieee_mode 1
		.amdhsa_fp16_overflow 0
		.amdhsa_workgroup_processor_mode 1
		.amdhsa_memory_ordered 1
		.amdhsa_forward_progress 1
		.amdhsa_shared_vgpr_count 0
		.amdhsa_exception_fp_ieee_invalid_op 0
		.amdhsa_exception_fp_denorm_src 0
		.amdhsa_exception_fp_ieee_div_zero 0
		.amdhsa_exception_fp_ieee_overflow 0
		.amdhsa_exception_fp_ieee_underflow 0
		.amdhsa_exception_fp_ieee_inexact 0
		.amdhsa_exception_int_div_zero 0
	.end_amdhsa_kernel
	.section	.text._ZL18flash_attn_ext_vecILi64ELi2EL9ggml_type2ELS0_8ELb1EEvPKcS2_S2_S2_S2_PKiPfP15HIP_vector_typeIfLj2EEffffjfiS6_IjLj3EEiiiiiiiiiiiliiliiiiil,"axG",@progbits,_ZL18flash_attn_ext_vecILi64ELi2EL9ggml_type2ELS0_8ELb1EEvPKcS2_S2_S2_S2_PKiPfP15HIP_vector_typeIfLj2EEffffjfiS6_IjLj3EEiiiiiiiiiiiliiliiiiil,comdat
.Lfunc_end13:
	.size	_ZL18flash_attn_ext_vecILi64ELi2EL9ggml_type2ELS0_8ELb1EEvPKcS2_S2_S2_S2_PKiPfP15HIP_vector_typeIfLj2EEffffjfiS6_IjLj3EEiiiiiiiiiiiliiliiiiil, .Lfunc_end13-_ZL18flash_attn_ext_vecILi64ELi2EL9ggml_type2ELS0_8ELb1EEvPKcS2_S2_S2_S2_PKiPfP15HIP_vector_typeIfLj2EEffffjfiS6_IjLj3EEiiiiiiiiiiiliiliiiiil
                                        ; -- End function
	.set _ZL18flash_attn_ext_vecILi64ELi2EL9ggml_type2ELS0_8ELb1EEvPKcS2_S2_S2_S2_PKiPfP15HIP_vector_typeIfLj2EEffffjfiS6_IjLj3EEiiiiiiiiiiiliiliiiiil.num_vgpr, max(0, .L_ZL14no_device_codePKciS0_iS0_.num_vgpr)
	.set _ZL18flash_attn_ext_vecILi64ELi2EL9ggml_type2ELS0_8ELb1EEvPKcS2_S2_S2_S2_PKiPfP15HIP_vector_typeIfLj2EEffffjfiS6_IjLj3EEiiiiiiiiiiiliiliiiiil.num_agpr, max(0, .L_ZL14no_device_codePKciS0_iS0_.num_agpr)
	.set _ZL18flash_attn_ext_vecILi64ELi2EL9ggml_type2ELS0_8ELb1EEvPKcS2_S2_S2_S2_PKiPfP15HIP_vector_typeIfLj2EEffffjfiS6_IjLj3EEiiiiiiiiiiiliiliiiiil.numbered_sgpr, max(33, .L_ZL14no_device_codePKciS0_iS0_.numbered_sgpr)
	.set _ZL18flash_attn_ext_vecILi64ELi2EL9ggml_type2ELS0_8ELb1EEvPKcS2_S2_S2_S2_PKiPfP15HIP_vector_typeIfLj2EEffffjfiS6_IjLj3EEiiiiiiiiiiiliiliiiiil.num_named_barrier, max(0, .L_ZL14no_device_codePKciS0_iS0_.num_named_barrier)
	.set _ZL18flash_attn_ext_vecILi64ELi2EL9ggml_type2ELS0_8ELb1EEvPKcS2_S2_S2_S2_PKiPfP15HIP_vector_typeIfLj2EEffffjfiS6_IjLj3EEiiiiiiiiiiiliiliiiiil.private_seg_size, 0+max(.L_ZL14no_device_codePKciS0_iS0_.private_seg_size)
	.set _ZL18flash_attn_ext_vecILi64ELi2EL9ggml_type2ELS0_8ELb1EEvPKcS2_S2_S2_S2_PKiPfP15HIP_vector_typeIfLj2EEffffjfiS6_IjLj3EEiiiiiiiiiiiliiliiiiil.uses_vcc, or(1, .L_ZL14no_device_codePKciS0_iS0_.uses_vcc)
	.set _ZL18flash_attn_ext_vecILi64ELi2EL9ggml_type2ELS0_8ELb1EEvPKcS2_S2_S2_S2_PKiPfP15HIP_vector_typeIfLj2EEffffjfiS6_IjLj3EEiiiiiiiiiiiliiliiiiil.uses_flat_scratch, or(0, .L_ZL14no_device_codePKciS0_iS0_.uses_flat_scratch)
	.set _ZL18flash_attn_ext_vecILi64ELi2EL9ggml_type2ELS0_8ELb1EEvPKcS2_S2_S2_S2_PKiPfP15HIP_vector_typeIfLj2EEffffjfiS6_IjLj3EEiiiiiiiiiiiliiliiiiil.has_dyn_sized_stack, or(0, .L_ZL14no_device_codePKciS0_iS0_.has_dyn_sized_stack)
	.set _ZL18flash_attn_ext_vecILi64ELi2EL9ggml_type2ELS0_8ELb1EEvPKcS2_S2_S2_S2_PKiPfP15HIP_vector_typeIfLj2EEffffjfiS6_IjLj3EEiiiiiiiiiiiliiliiiiil.has_recursion, or(0, .L_ZL14no_device_codePKciS0_iS0_.has_recursion)
	.set _ZL18flash_attn_ext_vecILi64ELi2EL9ggml_type2ELS0_8ELb1EEvPKcS2_S2_S2_S2_PKiPfP15HIP_vector_typeIfLj2EEffffjfiS6_IjLj3EEiiiiiiiiiiiliiliiiiil.has_indirect_call, or(0, .L_ZL14no_device_codePKciS0_iS0_.has_indirect_call)
	.section	.AMDGPU.csdata,"",@progbits
; Kernel info:
; codeLenInByte = 48
; TotalNumSgprs: 36
; NumVgprs: 40
; ScratchSize: 16
; MemoryBound: 0
; FloatMode: 240
; IeeeMode: 1
; LDSByteSize: 0 bytes/workgroup (compile time only)
; SGPRBlocks: 0
; VGPRBlocks: 4
; NumSGPRsForWavesPerEU: 36
; NumVGPRsForWavesPerEU: 40
; Occupancy: 16
; WaveLimiterHint : 1
; COMPUTE_PGM_RSRC2:SCRATCH_EN: 1
; COMPUTE_PGM_RSRC2:USER_SGPR: 6
; COMPUTE_PGM_RSRC2:TRAP_HANDLER: 0
; COMPUTE_PGM_RSRC2:TGID_X_EN: 1
; COMPUTE_PGM_RSRC2:TGID_Y_EN: 0
; COMPUTE_PGM_RSRC2:TGID_Z_EN: 0
; COMPUTE_PGM_RSRC2:TIDIG_COMP_CNT: 0
	.section	.text._ZL18flash_attn_ext_vecILi128ELi1EL9ggml_type2ELS0_8ELb0EEvPKcS2_S2_S2_S2_PKiPfP15HIP_vector_typeIfLj2EEffffjfiS6_IjLj3EEiiiiiiiiiiiliiliiiiil,"axG",@progbits,_ZL18flash_attn_ext_vecILi128ELi1EL9ggml_type2ELS0_8ELb0EEvPKcS2_S2_S2_S2_PKiPfP15HIP_vector_typeIfLj2EEffffjfiS6_IjLj3EEiiiiiiiiiiiliiliiiiil,comdat
	.globl	_ZL18flash_attn_ext_vecILi128ELi1EL9ggml_type2ELS0_8ELb0EEvPKcS2_S2_S2_S2_PKiPfP15HIP_vector_typeIfLj2EEffffjfiS6_IjLj3EEiiiiiiiiiiiliiliiiiil ; -- Begin function _ZL18flash_attn_ext_vecILi128ELi1EL9ggml_type2ELS0_8ELb0EEvPKcS2_S2_S2_S2_PKiPfP15HIP_vector_typeIfLj2EEffffjfiS6_IjLj3EEiiiiiiiiiiiliiliiiiil
	.p2align	8
	.type	_ZL18flash_attn_ext_vecILi128ELi1EL9ggml_type2ELS0_8ELb0EEvPKcS2_S2_S2_S2_PKiPfP15HIP_vector_typeIfLj2EEffffjfiS6_IjLj3EEiiiiiiiiiiiliiliiiiil,@function
_ZL18flash_attn_ext_vecILi128ELi1EL9ggml_type2ELS0_8ELb0EEvPKcS2_S2_S2_S2_PKiPfP15HIP_vector_typeIfLj2EEffffjfiS6_IjLj3EEiiiiiiiiiiiliiliiiiil: ; @_ZL18flash_attn_ext_vecILi128ELi1EL9ggml_type2ELS0_8ELb0EEvPKcS2_S2_S2_S2_PKiPfP15HIP_vector_typeIfLj2EEffffjfiS6_IjLj3EEiiiiiiiiiiiliiliiiiil
; %bb.0:
	s_clause 0x3
	s_load_dwordx2 s[28:29], s[4:5], 0x64
	s_load_dwordx2 s[34:35], s[4:5], 0x80
	;; [unrolled: 1-line block ×3, first 2 shown]
	s_load_dwordx4 s[24:27], s[4:5], 0x40
	v_mov_b32_e32 v33, 1.0
	s_waitcnt lgkmcnt(0)
	v_cvt_f32_u32_e32 v2, s29
	s_sub_i32 s1, 0, s29
	v_rcp_iflag_f32_e32 v2, v2
	v_mul_f32_e32 v2, 0x4f7ffffe, v2
	v_cvt_u32_f32_e32 v2, v2
	v_readfirstlane_b32 s0, v2
	s_mul_i32 s1, s1, s0
	s_mul_hi_u32 s1, s0, s1
	s_add_i32 s0, s0, s1
	s_mul_hi_u32 s0, s8, s0
	s_mul_i32 s1, s0, s29
	s_add_i32 s2, s0, 1
	s_sub_i32 s1, s8, s1
	s_sub_i32 s3, s1, s29
	s_cmp_ge_u32 s1, s29
	s_cselect_b32 s0, s2, s0
	s_cselect_b32 s1, s3, s1
	s_add_i32 s2, s0, 1
	s_cmp_ge_u32 s1, s29
	s_cselect_b32 s33, s2, s0
	s_abs_i32 s0, s35
	s_abs_i32 s9, s29
	v_cvt_f32_u32_e32 v2, s0
	s_sub_i32 s2, 0, s0
	s_xor_b32 s3, s29, s35
	s_ashr_i32 s3, s3, 31
	v_rcp_iflag_f32_e32 v2, v2
	v_mul_f32_e32 v2, 0x4f7ffffe, v2
	v_cvt_u32_f32_e32 v2, v2
	v_readfirstlane_b32 s1, v2
	s_mul_i32 s2, s2, s1
	s_mul_hi_u32 s2, s1, s2
	s_add_i32 s1, s1, s2
	s_mul_i32 s2, s33, s29
	s_mul_hi_u32 s1, s9, s1
	s_sub_i32 s30, s8, s2
	s_mul_i32 s10, s1, s0
	s_add_i32 s8, s1, 1
	s_sub_i32 s2, s9, s10
	s_sub_i32 s9, s2, s0
	s_cmp_ge_u32 s2, s0
	s_cselect_b32 s1, s8, s1
	s_cselect_b32 s2, s9, s2
	s_add_i32 s8, s1, 1
	s_cmp_ge_u32 s2, s0
	s_cselect_b32 s0, s8, s1
	s_abs_i32 s38, s36
	s_xor_b32 s0, s0, s3
	v_cvt_f32_u32_e32 v2, s38
	s_sub_i32 s41, s0, s3
	s_load_dword s0, s[4:5], 0x50
	s_abs_i32 s40, s41
	v_cmp_le_f32_e64 s1, s25, 0
	v_cvt_f32_u32_e32 v3, s40
	v_rcp_iflag_f32_e32 v2, v2
	s_sub_i32 s2, 0, s40
	s_abs_i32 s35, s30
	s_and_b32 vcc_lo, exec_lo, s1
	v_rcp_iflag_f32_e32 v3, v3
	s_sub_i32 s1, 0, s38
	s_abs_i32 s39, s33
	v_mul_f32_e32 v2, 0x4f7ffffe, v2
	v_mul_f32_e32 v3, 0x4f7ffffe, v3
	v_cvt_u32_f32_e32 v2, v2
	v_cvt_u32_f32_e32 v3, v3
	v_readfirstlane_b32 s3, v2
	v_readfirstlane_b32 s25, v3
	s_mul_i32 s1, s1, s3
	s_mul_hi_u32 s1, s3, s1
	s_mul_i32 s2, s2, s25
	s_add_i32 s3, s3, s1
	s_mul_hi_u32 s2, s25, s2
	s_add_i32 s25, s25, s2
	s_cbranch_vccnz .LBB14_2
; %bb.1:
	s_waitcnt lgkmcnt(0)
	v_sub_co_u32 v3, vcc_lo, s30, s0
	v_mov_b32_e32 v2, s26
	s_add_i32 s0, s30, 1
	v_lshlrev_b32_e32 v3, 1, v3
	v_cndmask_b32_e32 v2, s27, v2, vcc_lo
	v_or_b32_e32 v3, 1, v3
	v_cndmask_b32_e64 v3, v3, s0, vcc_lo
	v_cmp_neq_f32_e32 vcc_lo, 1.0, v2
	s_mov_b32 s0, 0x3e76c4e1
	v_cvt_f32_i32_e32 v3, v3
	v_cndmask_b32_e32 v4, 1.0, v3, vcc_lo
	v_cmp_neq_f32_e32 vcc_lo, 0, v4
	v_cndmask_b32_e32 v5, 1.0, v2, vcc_lo
	v_frexp_mant_f32_e64 v2, |v5|
	v_cmp_eq_f32_e64 s2, 0, v5
	v_cmp_gt_f32_e32 vcc_lo, 0x3f2aaaab, v2
	v_cndmask_b32_e64 v3, 1.0, 2.0, vcc_lo
	v_mul_f32_e32 v2, v2, v3
	v_add_f32_e32 v3, 1.0, v2
	v_add_f32_e32 v7, -1.0, v2
	v_rcp_f32_e32 v6, v3
	v_add_f32_e32 v9, -1.0, v3
	v_sub_f32_e32 v2, v2, v9
	v_mul_f32_e32 v8, v7, v6
	v_mul_f32_e32 v10, v3, v8
	v_fma_f32 v3, v8, v3, -v10
	v_fmac_f32_e32 v3, v8, v2
	v_add_f32_e32 v2, v10, v3
	v_sub_f32_e32 v9, v7, v2
	v_sub_f32_e32 v10, v2, v10
	;; [unrolled: 1-line block ×5, first 2 shown]
	v_add_f32_e32 v2, v3, v2
	v_add_f32_e32 v2, v9, v2
	v_mul_f32_e32 v2, v6, v2
	v_add_f32_e32 v6, v8, v2
	v_sub_f32_e32 v3, v6, v8
	v_mul_f32_e32 v7, v6, v6
	v_sub_f32_e32 v8, v2, v3
	v_fma_f32 v2, v6, v6, -v7
	v_add_f32_e32 v3, v8, v8
	v_fmac_f32_e32 v2, v6, v3
	v_add_f32_e32 v9, v7, v2
	v_fmaak_f32 v3, s0, v9, 0x3e91f4c4
	v_sub_f32_e32 v7, v9, v7
	v_mul_f32_e32 v14, v6, v9
	v_fmaak_f32 v3, v9, v3, 0x3ecccdef
	v_sub_f32_e32 v7, v2, v7
	v_fma_f32 v15, v9, v6, -v14
	v_mul_f32_e32 v10, v9, v3
	v_fmac_f32_e32 v15, v9, v8
	v_ldexp_f32 v8, v8, 1
	v_fma_f32 v11, v9, v3, -v10
	v_fmac_f32_e32 v15, v7, v6
	v_fmac_f32_e32 v11, v7, v3
	v_cvt_f64_f32_e64 v[2:3], |v5|
	v_add_f32_e32 v12, v10, v11
	v_sub_f32_e32 v10, v12, v10
	v_add_f32_e32 v13, 0x3f2aaaaa, v12
	v_sub_f32_e32 v10, v11, v10
	v_add_f32_e32 v11, 0xbf2aaaaa, v13
	v_add_f32_e32 v10, 0x31739010, v10
	v_sub_f32_e32 v11, v12, v11
	v_frexp_exp_i32_f64_e32 v2, v[2:3]
	v_add_f32_e32 v9, v10, v11
	v_add_f32_e32 v10, v14, v15
	v_add_f32_e32 v7, v13, v9
	v_sub_f32_e32 v12, v10, v14
	v_sub_f32_e32 v3, v13, v7
	v_mul_f32_e32 v11, v10, v7
	v_sub_f32_e32 v12, v15, v12
	v_add_f32_e32 v3, v9, v3
	v_fma_f32 v9, v10, v7, -v11
	v_subrev_co_ci_u32_e64 v2, null, 0, v2, vcc_lo
	v_fmac_f32_e32 v9, v10, v3
	v_ldexp_f32 v3, v6, 1
	v_cvt_f32_i32_e32 v2, v2
	v_fmac_f32_e32 v9, v12, v7
	v_add_f32_e32 v6, v11, v9
	v_add_f32_e32 v7, v3, v6
	v_sub_f32_e32 v10, v6, v11
	v_mul_f32_e32 v11, 0x3f317218, v2
	v_sub_f32_e32 v3, v7, v3
	v_sub_f32_e32 v9, v9, v10
	v_fma_f32 v10, 0x3f317218, v2, -v11
	v_sub_f32_e32 v3, v6, v3
	v_add_f32_e32 v6, v8, v9
	v_fmamk_f32 v2, v2, 0xb102e308, v10
	v_add_f32_e32 v3, v6, v3
	v_add_f32_e32 v6, v11, v2
	;; [unrolled: 1-line block ×3, first 2 shown]
	v_sub_f32_e32 v11, v6, v11
	v_add_f32_e32 v9, v6, v8
	v_sub_f32_e32 v7, v8, v7
	v_sub_f32_e32 v2, v2, v11
	;; [unrolled: 1-line block ×6, first 2 shown]
	v_add_f32_e32 v8, v2, v3
	v_sub_f32_e32 v6, v6, v12
	v_add_f32_e32 v6, v7, v6
	v_sub_f32_e32 v7, v8, v2
	v_add_f32_e32 v6, v8, v6
	v_sub_f32_e32 v8, v8, v7
	v_sub_f32_e32 v3, v3, v7
	v_add_f32_e32 v10, v9, v6
	v_sub_f32_e32 v2, v2, v8
	v_sub_f32_e32 v7, v10, v9
	v_add_f32_e32 v2, v3, v2
	v_sub_f32_e32 v3, v6, v7
	v_add_f32_e32 v2, v2, v3
	v_add_f32_e32 v3, v10, v2
	v_sub_f32_e32 v6, v3, v10
	v_mul_f32_e32 v7, v4, v3
	v_sub_f32_e32 v2, v2, v6
	v_fma_f32 v3, v4, v3, -v7
	v_cmp_class_f32_e64 vcc_lo, v7, 0x204
	v_fmac_f32_e32 v3, v4, v2
	v_add_f32_e32 v2, v7, v3
	v_cndmask_b32_e32 v6, v2, v7, vcc_lo
	v_sub_f32_e32 v2, v2, v7
	v_cmp_eq_f32_e32 vcc_lo, 0x42b17218, v6
	v_sub_f32_e32 v2, v3, v2
	v_cndmask_b32_e64 v8, 0, 0x37000000, vcc_lo
	v_cmp_neq_f32_e64 vcc_lo, 0x7f800000, |v6|
	v_sub_f32_e32 v9, v6, v8
	v_cndmask_b32_e32 v2, 0, v2, vcc_lo
	v_trunc_f32_e32 v6, v4
	v_mul_f32_e32 v10, 0x3fb8aa3b, v9
	v_cmp_ngt_f32_e32 vcc_lo, 0xc2ce8ed0, v9
	v_add_f32_e32 v2, v8, v2
	v_fma_f32 v11, 0x3fb8aa3b, v9, -v10
	v_rndne_f32_e32 v12, v10
	v_fmamk_f32 v11, v9, 0x32a5705f, v11
	v_sub_f32_e32 v10, v10, v12
	v_cvt_i32_f32_e32 v7, v12
	v_add_f32_e32 v10, v10, v11
	v_exp_f32_e32 v10, v10
	v_ldexp_f32 v3, v10, v7
	v_mul_f32_e32 v7, 0.5, v4
	v_cndmask_b32_e32 v3, 0, v3, vcc_lo
	v_cmp_nlt_f32_e32 vcc_lo, 0x42b17218, v9
	v_trunc_f32_e32 v10, v7
	v_cndmask_b32_e32 v3, 0x7f800000, v3, vcc_lo
	v_cmp_eq_f32_e32 vcc_lo, v6, v4
	v_cmp_neq_f32_e64 s0, v10, v7
	v_fma_f32 v2, v3, v2, v3
	v_cmp_class_f32_e64 s1, v3, 0x204
	s_and_b32 s0, vcc_lo, s0
	v_cndmask_b32_e64 v6, 1.0, v5, s0
	v_cndmask_b32_e64 v2, v2, v3, s1
	v_cmp_gt_f32_e64 s1, 0, v4
	v_bfi_b32 v2, 0x7fffffff, v2, v6
	s_xor_b32 s1, s1, s2
	v_cndmask_b32_e64 v6, 0, v5, s0
	v_cndmask_b32_e64 v3, 0x7f800000, 0, s1
	v_cmp_class_f32_e64 s0, v5, 0x204
	v_cndmask_b32_e32 v4, 0x7fc00000, v2, vcc_lo
	v_cmp_gt_f32_e32 vcc_lo, 0, v5
	v_bfi_b32 v3, 0x7fffffff, v3, v6
	v_cndmask_b32_e32 v2, v2, v4, vcc_lo
	s_or_b32 vcc_lo, s2, s0
	v_cndmask_b32_e32 v2, v2, v3, vcc_lo
	v_cmp_o_f32_e32 vcc_lo, v5, v5
	v_cndmask_b32_e32 v33, 0x7fc00000, v2, vcc_lo
.LBB14_2:
	s_load_dwordx16 s[8:23], s[4:5], 0x0
	s_waitcnt lgkmcnt(0)
	v_cmp_eq_u32_e64 s0, 0, v1
	v_mbcnt_lo_u32_b32 v32, -1, 0
	s_mul_hi_u32 s42, s35, s25
	s_mul_hi_u32 s36, s39, s3
	s_and_saveexec_b32 s25, s0
	s_cbranch_execz .LBB14_7
; %bb.3:
	s_load_dwordx4 s[44:47], s[4:5], 0x70
	v_lshlrev_b32_e32 v2, 4, v0
	v_xor_b32_e32 v13, 1, v32
	s_waitcnt lgkmcnt(0)
	s_mul_i32 s1, s33, s46
	s_mul_i32 s2, s44, s6
	;; [unrolled: 1-line block ×3, first 2 shown]
	s_add_i32 s1, s1, s2
	s_add_i32 s1, s1, s3
	s_ashr_i32 s3, s1, 31
	s_add_u32 s2, s8, s1
	s_addc_u32 s3, s9, s3
	s_mov_b32 s8, exec_lo
	global_load_dwordx4 v[9:12], v2, s[2:3]
	v_xor_b32_e32 v2, 4, v32
	v_cmp_gt_i32_e32 vcc_lo, 32, v2
	v_cndmask_b32_e32 v2, v32, v2, vcc_lo
	v_lshlrev_b32_e32 v2, 2, v2
	s_waitcnt vmcnt(0)
	v_mul_f32_e32 v4, s24, v9
	v_mul_f32_e32 v6, s24, v10
	;; [unrolled: 1-line block ×4, first 2 shown]
	v_xor_b32_e32 v10, 2, v32
	v_max_f32_e64 v3, |v4|, |v6|
	v_fma_f32 v9, s24, v9, v6
	v_cmp_gt_i32_e32 vcc_lo, 32, v10
	v_max3_f32 v3, v3, |v8|, |v7|
	v_fmac_f32_e32 v9, s24, v11
	v_cndmask_b32_e32 v10, v32, v10, vcc_lo
	v_cmp_gt_i32_e32 vcc_lo, 32, v13
	ds_bpermute_b32 v5, v2, v3
	v_fmac_f32_e32 v9, s24, v12
	v_lshlrev_b32_e32 v10, 2, v10
	v_cndmask_b32_e32 v13, v32, v13, vcc_lo
	ds_bpermute_b32 v2, v2, v9
	v_lshlrev_b32_e32 v13, 2, v13
	s_waitcnt lgkmcnt(1)
	v_max_f32_e32 v5, v5, v5
	v_max_f32_e32 v3, v3, v5
	s_waitcnt lgkmcnt(0)
	v_add_f32_e32 v2, v9, v2
	ds_bpermute_b32 v5, v10, v3
	s_waitcnt lgkmcnt(0)
	v_max_f32_e32 v5, v5, v5
	v_max_f32_e32 v3, v3, v5
	ds_bpermute_b32 v5, v13, v3
	s_waitcnt lgkmcnt(0)
	v_max_f32_e32 v5, v5, v5
	v_max_f32_e32 v11, v3, v5
	ds_bpermute_b32 v5, v10, v2
	v_div_scale_f32 v12, null, 0x42fe0000, 0x42fe0000, v11
	v_div_scale_f32 v9, vcc_lo, v11, 0x42fe0000, v11
	v_rcp_f32_e32 v14, v12
	v_fma_f32 v3, -v12, v14, 1.0
	v_fmac_f32_e32 v14, v3, v14
	s_waitcnt lgkmcnt(0)
	v_add_f32_e32 v3, v2, v5
	v_mul_f32_e32 v10, v9, v14
	ds_bpermute_b32 v5, v13, v3
	v_fma_f32 v15, -v12, v10, v9
	v_fmac_f32_e32 v10, v15, v14
	v_fma_f32 v2, -v12, v10, v9
	v_mov_b32_e32 v9, 0
	v_div_fmas_f32 v2, v2, v14, v10
	v_div_fixup_f32 v2, v2, 0x42fe0000, v11
	v_cmpx_neq_f32_e32 0, v2
	s_cbranch_execz .LBB14_5
; %bb.4:
	v_div_scale_f32 v9, null, v2, v2, v4
	v_div_scale_f32 v10, null, v2, v2, v6
	;; [unrolled: 1-line block ×3, first 2 shown]
	v_rcp_f32_e32 v11, v9
	v_div_scale_f32 v13, null, v2, v2, v7
	v_rcp_f32_e32 v14, v10
	v_rcp_f32_e32 v15, v12
	v_div_scale_f32 v19, vcc_lo, v4, v2, v4
	v_rcp_f32_e32 v16, v13
	v_fma_f32 v17, -v9, v11, 1.0
	v_fma_f32 v18, -v10, v14, 1.0
	;; [unrolled: 1-line block ×3, first 2 shown]
	v_fmac_f32_e32 v11, v17, v11
	v_div_scale_f32 v17, s1, v6, v2, v6
	v_fma_f32 v21, -v13, v16, 1.0
	v_fmac_f32_e32 v14, v18, v14
	v_fmac_f32_e32 v15, v20, v15
	v_div_scale_f32 v18, s2, v8, v2, v8
	v_fmac_f32_e32 v16, v21, v16
	v_mul_f32_e32 v21, v19, v11
	v_mul_f32_e32 v22, v17, v14
	;; [unrolled: 1-line block ×3, first 2 shown]
	v_div_scale_f32 v20, s3, v7, v2, v7
	v_fma_f32 v25, -v9, v21, v19
	v_fma_f32 v26, -v10, v22, v17
	;; [unrolled: 1-line block ×3, first 2 shown]
	v_mul_f32_e32 v24, v20, v16
	v_fmac_f32_e32 v21, v25, v11
	v_fmac_f32_e32 v22, v26, v14
	;; [unrolled: 1-line block ×3, first 2 shown]
	v_fma_f32 v28, -v13, v24, v20
	v_fma_f32 v9, -v9, v21, v19
	v_fma_f32 v10, -v10, v22, v17
	v_fma_f32 v12, -v12, v23, v18
	v_fmac_f32_e32 v24, v28, v16
	v_div_fmas_f32 v9, v9, v11, v21
	s_mov_b32 vcc_lo, s1
	v_div_fmas_f32 v10, v10, v14, v22
	s_mov_b32 vcc_lo, s2
	v_div_fixup_f32 v4, v9, v2, v4
	v_div_fmas_f32 v11, v12, v15, v23
	v_fma_f32 v12, -v13, v24, v20
	s_mov_b32 vcc_lo, s3
	v_div_fixup_f32 v6, v10, v2, v6
	v_div_fixup_f32 v8, v11, v2, v8
	v_div_fmas_f32 v11, v12, v16, v24
	v_trunc_f32_e32 v10, v6
	v_trunc_f32_e32 v12, v8
	v_div_fixup_f32 v7, v11, v2, v7
	v_trunc_f32_e32 v11, v4
	v_sub_f32_e32 v14, v6, v10
	v_sub_f32_e32 v9, v8, v12
	v_trunc_f32_e32 v13, v7
	v_sub_f32_e32 v16, v4, v11
	v_cmp_ge_f32_e64 s1, |v9|, 0.5
	v_sub_f32_e32 v15, v7, v13
	v_cndmask_b32_e64 v9, 0, 1.0, s1
	v_cmp_ge_f32_e64 s1, |v14|, 0.5
	v_bfi_b32 v8, 0x7fffffff, v9, v8
	v_cndmask_b32_e64 v9, 0, 1.0, s1
	v_cmp_ge_f32_e64 s1, |v15|, 0.5
	v_add_f32_e32 v8, v12, v8
	v_bfi_b32 v6, 0x7fffffff, v9, v6
	v_cndmask_b32_e64 v14, 0, 1.0, s1
	v_cmp_ge_f32_e64 s1, |v16|, 0.5
	v_mov_b32_e32 v9, 8
	v_cvt_i32_f32_e32 v8, v8
	v_add_f32_e32 v6, v10, v6
	v_bfi_b32 v7, 0x7fffffff, v14, v7
	v_cndmask_b32_e64 v12, 0, 1.0, s1
	v_and_b32_e32 v8, 0xff, v8
	v_cvt_i32_f32_e32 v6, v6
	v_add_f32_e32 v7, v13, v7
	v_bfi_b32 v4, 0x7fffffff, v12, v4
	v_lshlrev_b32_e32 v8, 16, v8
	v_lshlrev_b32_sdwa v6, v9, v6 dst_sel:DWORD dst_unused:UNUSED_PAD src0_sel:DWORD src1_sel:BYTE_0
	v_cvt_i32_f32_e32 v7, v7
	v_add_f32_e32 v4, v11, v4
	v_lshl_or_b32 v7, v7, 24, v8
	v_cvt_i32_f32_e32 v4, v4
	v_and_b32_e32 v4, 0xff, v4
	v_or3_b32 v9, v7, v6, v4
.LBB14_5:
	s_or_b32 exec_lo, exec_lo, s8
	v_and_b32_e32 v4, 7, v0
	v_lshlrev_b32_e32 v6, 2, v0
	v_cmp_eq_u32_e32 vcc_lo, 0, v4
	ds_write_b32 v6, v9
	s_and_b32 exec_lo, exec_lo, vcc_lo
	s_cbranch_execz .LBB14_7
; %bb.6:
	s_waitcnt lgkmcnt(1)
	v_add_f32_e32 v3, v3, v5
	ds_write_b64 v0, v[2:3] offset:128
.LBB14_7:
	s_or_b32 exec_lo, exec_lo, s25
	v_and_b32_e32 v12, 1, v0
	v_mov_b32_e32 v37, 0
	s_waitcnt lgkmcnt(0)
	s_barrier
	buffer_gl0_inv
	v_lshlrev_b32_e32 v10, 2, v12
	s_ashr_i32 s31, s30, 31
	s_ashr_i32 s1, s41, 31
	;; [unrolled: 1-line block ×3, first 2 shown]
	s_cmp_eq_u64 s[18:19], 0
	ds_read2_b32 v[14:15], v10 offset1:2
	ds_read2_b32 v[16:17], v10 offset0:4 offset1:6
	ds_read2_b32 v[18:19], v10 offset0:8 offset1:10
	;; [unrolled: 1-line block ×3, first 2 shown]
	ds_read_b128 v[2:5], v37 offset:128
	ds_read_b128 v[6:9], v37 offset:144
	ds_read2_b32 v[22:23], v10 offset0:16 offset1:18
	ds_read2_b32 v[24:25], v10 offset0:20 offset1:22
	;; [unrolled: 1-line block ×4, first 2 shown]
	s_waitcnt lgkmcnt(0)
	s_barrier
	buffer_gl0_inv
	s_cbranch_scc1 .LBB14_9
; %bb.8:
	s_load_dword s2, s[4:5], 0xd0
	s_mov_b32 s3, 0
	s_waitcnt lgkmcnt(0)
	s_mul_i32 s2, s2, s33
	s_add_i32 s2, s2, s6
	s_lshl_b64 s[2:3], s[2:3], 2
	s_add_u32 s2, s18, s2
	s_addc_u32 s3, s19, s3
	s_load_dword s34, s[2:3], 0x0
.LBB14_9:
	v_lshlrev_b32_e32 v11, 5, v1
	v_lshlrev_b32_e32 v36, 2, v0
	s_lshl_b32 s18, s7, 7
	s_mov_b32 s19, 0
	s_waitcnt lgkmcnt(0)
	s_cmp_ge_i32 s18, s34
	v_add_nc_u32_e32 v34, v11, v0
	v_lshlrev_b32_e32 v35, 1, v34
	s_cbranch_scc1 .LBB14_17
; %bb.10:
	s_clause 0x1
	s_load_dwordx4 s[24:27], s[4:5], 0x98
	s_load_dwordx2 s[2:3], s[4:5], 0x8c
	s_mul_i32 s44, s42, s40
	s_xor_b32 s41, s31, s1
	s_sub_i32 s44, s35, s44
	s_add_i32 s45, s42, 1
	s_mul_i32 s46, s36, s38
	s_mul_i32 s47, s37, s6
	s_clause 0x2
	s_load_dwordx2 s[8:9], s[4:5], 0xa8
	s_load_dwordx2 s[36:37], s[4:5], 0xc8
	s_load_dword s48, s[4:5], 0xd4
	v_and_b32_e32 v13, 0x7e, v0
	v_bfe_u32 v30, v0, 3, 27
	v_cmp_eq_u32_e64 s1, 0, v12
	v_and_b32_e32 v44, 28, v36
	v_add_nc_u32_e32 v48, 31, v11
	v_add_nc_u32_e32 v12, v11, v13
	v_mul_hi_u32_u24_e32 v31, 34, v30
	v_mul_u32_u24_e32 v30, 34, v30
	v_add_nc_u32_e32 v54, 29, v11
	v_add_nc_u32_e32 v68, 28, v11
	v_lshlrev_b32_e32 v13, 1, v12
	s_waitcnt lgkmcnt(0)
	s_mul_hi_u32 s35, s24, s33
	s_mul_i32 s49, s24, s43
	s_mul_i32 s25, s25, s33
	s_add_i32 s35, s35, s49
	s_sub_i32 s49, s44, s40
	s_add_i32 s35, s35, s25
	s_cmp_ge_u32 s44, s40
	v_mul_lo_u32 v45, v11, s26
	s_cselect_b32 s25, s45, s42
	s_cselect_b32 s42, s49, s44
	s_add_i32 s44, s25, 1
	s_cmp_ge_u32 s42, s40
	v_mad_u64_u32 v[42:43], null, s8, s33, v[30:31]
	s_cselect_b32 s25, s44, s25
	s_sub_i32 s42, s39, s46
	s_xor_b32 s25, s25, s41
	v_add_nc_u32_e32 v38, s26, v45
	s_sub_i32 s39, s25, s41
	s_sub_i32 s25, s42, s38
	s_mul_i32 s3, s39, s3
	s_mul_i32 s39, s39, s27
	s_ashr_i32 s27, s3, 31
	s_ashr_i32 s40, s39, 31
	s_cmp_ge_u32 s42, s38
	v_add_nc_u32_e32 v39, s26, v38
	s_cselect_b32 s25, s25, s42
	s_mul_i32 s9, s9, s33
	s_sub_i32 s41, s25, s38
	s_cmp_ge_u32 s25, s38
	s_mul_i32 s8, s8, s43
	s_cselect_b32 s25, s41, s25
	s_ashr_i32 s42, s47, 31
	s_xor_b32 s25, s25, s43
	v_ashrrev_i32_e32 v46, 31, v45
	s_sub_i32 s25, s25, s43
	v_add3_u32 v43, s8, s9, v43
	s_ashr_i32 s38, s25, 31
	s_mul_hi_u32 s41, s36, s25
	s_mul_i32 s38, s36, s38
	s_mul_i32 s37, s37, s25
	s_add_i32 s38, s41, s38
	s_mul_i32 s46, s36, s25
	s_add_i32 s37, s38, s37
	s_cmp_lg_u64 s[14:15], 0
	v_add_nc_u32_e32 v40, s26, v39
	s_cselect_b32 s25, -1, 0
	s_lshl_b32 s36, s48, 7
	s_add_u32 s41, s10, s3
	s_addc_u32 s38, s11, s27
	s_lshl_b64 s[44:45], s[18:19], 1
	v_add_nc_u32_e32 v41, s26, v40
	s_add_u32 s44, s46, s44
	s_addc_u32 s37, s37, s45
	s_add_u32 s14, s14, s47
	s_addc_u32 s15, s15, s42
	;; [unrolled: 2-line block ×3, first 2 shown]
	v_add_co_u32 v13, s14, s14, v13
	v_add_co_ci_u32_e64 v31, null, s15, 0, s14
	v_mul_lo_u32 v68, s26, v68
	v_add_co_u32 v30, vcc_lo, v13, 2
	v_add_co_ci_u32_e64 v31, null, 0, v31, vcc_lo
	v_add_co_u32 v13, vcc_lo, v42, v45
	v_add_co_ci_u32_e64 v37, null, v43, v46, vcc_lo
	;; [unrolled: 2-line block ×3, first 2 shown]
	v_add_nc_u32_e32 v69, 26, v11
	v_add_co_u32 v52, vcc_lo, v44, v45
	v_mul_lo_u32 v45, s26, v48
	v_add_co_ci_u32_e64 v53, null, v47, v46, vcc_lo
	v_add_nc_u32_e32 v46, s26, v41
	v_add_nc_u32_e32 v48, 30, v11
	v_add_co_u32 v42, vcc_lo, v42, s39
	v_add_co_ci_u32_e64 v43, null, s40, v43, vcc_lo
	v_add_nc_u32_e32 v49, s26, v46
	v_add_co_u32 v44, vcc_lo, v44, s39
	v_add_co_ci_u32_e64 v47, null, s40, v47, vcc_lo
	v_ashrrev_i32_e32 v50, 31, v45
	v_mul_lo_u32 v48, s26, v48
	v_add_nc_u32_e32 v51, s26, v49
	v_add_co_u32 v58, vcc_lo, v44, v45
	v_add_co_ci_u32_e64 v59, null, v47, v50, vcc_lo
	v_add_co_u32 v60, vcc_lo, v42, v45
	v_add_co_ci_u32_e64 v61, null, v43, v50, vcc_lo
	v_mul_lo_u32 v50, s26, v54
	v_add_nc_u32_e32 v55, s26, v51
	v_ashrrev_i32_e32 v45, 31, v48
	v_add_co_u32 v62, vcc_lo, v44, v48
	v_ashrrev_i32_e32 v110, 31, v68
	v_add_nc_u32_e32 v54, s26, v55
	v_add_co_ci_u32_e64 v63, null, v47, v45, vcc_lo
	v_add_co_u32 v64, vcc_lo, v42, v48
	v_add_nc_u32_e32 v48, 27, v11
	v_add_co_ci_u32_e64 v65, null, v43, v45, vcc_lo
	v_ashrrev_i32_e32 v45, 31, v50
	v_add_nc_u32_e32 v56, s26, v54
	v_add_co_u32 v66, vcc_lo, v44, v50
	v_mul_lo_u32 v48, s26, v48
	v_add_co_ci_u32_e64 v67, null, v47, v45, vcc_lo
	v_add_co_u32 v71, vcc_lo, v42, v50
	v_add_co_ci_u32_e64 v72, null, v43, v45, vcc_lo
	v_mul_lo_u32 v45, s26, v69
	v_add_nc_u32_e32 v69, 25, v11
	v_add_nc_u32_e32 v57, s26, v56
	;; [unrolled: 1-line block ×3, first 2 shown]
	v_add_co_u32 v112, vcc_lo, v44, v68
	v_ashrrev_i32_e32 v73, 31, v48
	v_mul_lo_u32 v69, s26, v69
	v_add_nc_u32_e32 v70, s26, v57
	v_add_co_ci_u32_e64 v113, null, v47, v110, vcc_lo
	v_add_co_u32 v114, vcc_lo, v42, v68
	v_add_nc_u32_e32 v76, 23, v11
	v_add_co_ci_u32_e64 v110, null, v43, v110, vcc_lo
	v_add_co_u32 v115, vcc_lo, v44, v48
	v_ashrrev_i32_e32 v77, 31, v45
	v_mul_lo_u32 v74, s26, v74
	v_add_co_ci_u32_e64 v116, null, v47, v73, vcc_lo
	v_add_co_u32 v117, vcc_lo, v42, v48
	v_add_nc_u32_e32 v50, s26, v70
	v_add_nc_u32_e32 v79, 22, v11
	v_add_co_ci_u32_e64 v118, null, v43, v73, vcc_lo
	v_add_co_u32 v119, vcc_lo, v44, v45
	v_mul_lo_u32 v76, s26, v76
	v_ashrrev_i32_e32 v85, 31, v69
	v_add_co_ci_u32_e64 v120, null, v47, v77, vcc_lo
	v_add_co_u32 v121, vcc_lo, v42, v45
	v_add_nc_u32_e32 v75, s26, v50
	v_add_nc_u32_e32 v80, 21, v11
	v_add_co_ci_u32_e64 v122, null, v43, v77, vcc_lo
	v_add_co_u32 v123, vcc_lo, v44, v69
	v_mul_lo_u32 v79, s26, v79
	v_ashrrev_i32_e32 v86, 31, v74
	v_add_co_ci_u32_e64 v124, null, v47, v85, vcc_lo
	v_add_co_u32 v125, vcc_lo, v42, v69
	v_add_nc_u32_e32 v81, 20, v11
	v_add_co_ci_u32_e64 v85, null, v43, v85, vcc_lo
	v_add_co_u32 v126, vcc_lo, v44, v74
	v_add_nc_u32_e32 v78, s26, v75
	v_mul_lo_u32 v80, s26, v80
	v_ashrrev_i32_e32 v87, 31, v76
	v_add_co_ci_u32_e64 v127, null, v47, v86, vcc_lo
	v_add_co_u32 v128, vcc_lo, v42, v74
	v_add_nc_u32_e32 v83, 19, v11
	v_add_co_ci_u32_e64 v129, null, v43, v86, vcc_lo
	v_add_co_u32 v130, vcc_lo, v44, v76
	v_mul_lo_u32 v81, s26, v81
	v_ashrrev_i32_e32 v89, 31, v79
	v_add_nc_u32_e32 v82, s26, v78
	v_add_co_ci_u32_e64 v131, null, v47, v87, vcc_lo
	v_add_co_u32 v132, vcc_lo, v42, v76
	v_add_co_ci_u32_e64 v133, null, v43, v87, vcc_lo
	v_add_co_u32 v134, vcc_lo, v44, v79
	v_mul_lo_u32 v83, s26, v83
	v_ashrrev_i32_e32 v90, 31, v80
	v_add_co_ci_u32_e64 v135, null, v47, v89, vcc_lo
	v_add_co_u32 v136, vcc_lo, v42, v79
	v_add_nc_u32_e32 v84, s26, v82
	v_add_co_ci_u32_e64 v137, null, v43, v89, vcc_lo
	v_add_co_u32 v138, vcc_lo, v44, v80
	v_ashrrev_i32_e32 v91, 31, v81
	v_add_co_ci_u32_e64 v139, null, v47, v90, vcc_lo
	v_add_co_u32 v140, vcc_lo, v42, v80
	v_add_nc_u32_e32 v88, s26, v84
	v_add_co_ci_u32_e64 v141, null, v43, v90, vcc_lo
	v_add_co_u32 v142, vcc_lo, v44, v81
	v_ashrrev_i32_e32 v92, 31, v83
	v_add_co_ci_u32_e64 v143, null, v47, v91, vcc_lo
	v_add_co_u32 v144, vcc_lo, v42, v81
	v_add_co_ci_u32_e64 v145, null, v43, v91, vcc_lo
	v_add_co_u32 v146, vcc_lo, v44, v83
	v_ashrrev_i32_e32 v93, 31, v88
	v_add_co_ci_u32_e64 v147, null, v47, v92, vcc_lo
	v_add_co_u32 v148, vcc_lo, v42, v83
	;; [unrolled: 5-line block ×17, first 2 shown]
	v_add_co_ci_u32_e64 v209, null, v43, v107, vcc_lo
	v_add_co_u32 v210, vcc_lo, v44, v40
	v_add_co_ci_u32_e64 v211, null, v47, v108, vcc_lo
	v_add_co_u32 v212, vcc_lo, v42, v40
	v_and_b32_e32 v40, 30, v32
	v_ashrrev_i32_e32 v109, 31, v38
	v_ashrrev_i32_e32 v111, 31, v39
	v_add_co_ci_u32_e64 v213, null, v43, v108, vcc_lo
	v_add_co_u32 v54, vcc_lo, v42, v38
	v_add_nc_u32_e32 v40, 2, v40
	v_xor_b32_e32 v41, 1, v32
	v_add_co_ci_u32_e64 v55, null, v43, v109, vcc_lo
	v_add_co_u32 v214, vcc_lo, v42, v39
	v_add_co_ci_u32_e64 v215, null, v43, v111, vcc_lo
	v_add_co_u32 v216, vcc_lo, v44, v39
	v_add_co_ci_u32_e64 v217, null, v47, v111, vcc_lo
	v_cmp_lt_i32_e32 vcc_lo, v41, v40
	v_xor_b32_e32 v40, 4, v32
	v_mul_lo_u32 v12, v12, s2
	v_xor_b32_e32 v42, 16, v32
	s_mul_i32 s8, s24, s33
	v_cndmask_b32_e32 v39, v32, v41, vcc_lo
	v_add_co_u32 v218, vcc_lo, v44, v38
	v_add_co_ci_u32_e64 v219, null, v47, v109, vcc_lo
	v_lshlrev_b32_e32 v38, 2, v39
	v_xor_b32_e32 v39, 2, v32
	v_xor_b32_e32 v41, 8, v32
	v_add_nc_u32_e32 v48, s2, v12
	v_add_co_u32 v10, s9, s8, v10
	v_cmp_gt_i32_e32 vcc_lo, 32, v39
	v_add_co_ci_u32_e64 v50, null, s35, 0, s9
	v_ashrrev_i32_e32 v49, 31, v48
	s_mov_b32 s37, s19
	v_cndmask_b32_e32 v39, v32, v39, vcc_lo
	v_cmp_gt_i32_e32 vcc_lo, 32, v40
	s_lshl_b64 s[14:15], s[36:37], 1
	s_add_u32 s9, s12, s39
	s_addc_u32 s19, s13, s40
	v_lshlrev_b32_e32 v43, 1, v11
	v_cndmask_b32_e32 v40, v32, v40, vcc_lo
	v_cmp_gt_i32_e32 vcc_lo, 32, v41
	s_add_u32 s37, s41, s8
	v_lshlrev_b32_e32 v39, 2, v39
	s_mul_i32 s24, s26, s18
	v_lshlrev_b32_e32 v40, 2, v40
	v_cndmask_b32_e32 v41, v32, v41, vcc_lo
	v_cmp_gt_i32_e32 vcc_lo, 32, v42
	s_mul_i32 s26, s36, s26
	v_lshlrev_b32_e32 v41, 2, v41
	v_cndmask_b32_e32 v42, v32, v42, vcc_lo
	v_add_co_u32 v44, vcc_lo, v10, v48
	v_add_co_ci_u32_e64 v45, null, v50, v49, vcc_lo
	v_lshlrev_b32_e32 v42, 2, v42
	v_add_co_u32 v44, vcc_lo, s41, v44
	v_add_co_ci_u32_e64 v45, null, s38, v45, vcc_lo
	v_add_co_u32 v46, vcc_lo, s9, v13
	v_add_co_ci_u32_e64 v47, null, s19, v37, vcc_lo
	;; [unrolled: 2-line block ×3, first 2 shown]
	v_ashrrev_i32_e32 v13, 31, v12
	v_add_co_u32 v10, vcc_lo, v10, v12
	s_addc_u32 s38, s38, s35
	s_add_u32 s3, s8, s3
	v_add_co_ci_u32_e64 v11, null, v11, v13, vcc_lo
	v_add_co_u32 v48, vcc_lo, s37, v48
	v_add_co_ci_u32_e64 v49, null, s38, v49, vcc_lo
	v_add_co_u32 v50, vcc_lo, s10, v10
	s_addc_u32 s8, s35, s27
	v_add_co_ci_u32_e64 v51, null, s11, v11, vcc_lo
	v_add_co_u32 v52, vcc_lo, s9, v52
	s_add_u32 s3, s10, s3
	v_add_co_ci_u32_e64 v53, null, s19, v53, vcc_lo
	s_addc_u32 s8, s11, s8
	v_add_co_u32 v10, vcc_lo, s3, v12
	v_add_co_ci_u32_e64 v11, null, s8, v13, vcc_lo
	v_add_co_u32 v54, vcc_lo, s12, v54
	v_add_co_ci_u32_e64 v55, null, s13, v55, vcc_lo
	;; [unrolled: 2-line block ×64, first 2 shown]
	v_mov_b32_e32 v37, 0
	v_mov_b32_e32 v12, 0xfeffffff
	v_mov_b32_e32 v10, 0
	v_mov_b32_e32 v180, 0x10001
	v_mov_b32_e32 v11, 0
	s_mul_i32 s13, s2, s18
	s_mul_i32 s19, s36, s2
.LBB14_11:                              ; =>This Inner Loop Header: Depth=1
	v_add_co_u32 v181, vcc_lo, v56, s13
	v_add_co_ci_u32_e64 v182, null, 0, v57, vcc_lo
	v_add_co_u32 v183, vcc_lo, v50, s13
	v_add_co_ci_u32_e64 v184, null, 0, v51, vcc_lo
	v_mov_b32_e32 v186, 0
	v_mov_b32_e32 v189, 0
	;; [unrolled: 1-line block ×3, first 2 shown]
	s_clause 0x1
	global_load_dword v13, v[183:184], off offset:2
	global_load_dword v187, v[183:184], off offset:10
	s_and_b32 vcc_lo, exec_lo, s25
	s_waitcnt vmcnt(1)
	v_and_b32_e32 v185, 0xf0f0f0f, v13
	s_waitcnt vmcnt(0)
	v_and_b32_e32 v188, 0xf0f0f0f, v187
	v_lshrrev_b32_e32 v13, 4, v13
	v_dot4c_i32_i8 v186, v185, v14
	global_load_ushort v185, v[181:182], off offset:-54
	v_dot4c_i32_i8 v189, v188, v15
	v_and_b32_e32 v13, 0xf0f0f0f, v13
	v_cvt_f32_i32_e32 v186, v186
	v_cvt_f32_i32_e32 v188, v189
	v_fma_f32 v186, v2, v186, -v3
	v_fma_f32 v188, v2, v188, -v3
	s_waitcnt vmcnt(0)
	v_fma_mix_f32 v186, v186, v185, 0 op_sel_hi:[0,1,0]
	v_fma_mix_f32 v186, v188, v185, v186 op_sel_hi:[0,1,0]
	v_mov_b32_e32 v188, 0
	v_dot4c_i32_i8 v188, v13, v16
	v_cvt_f32_i32_e32 v13, v188
	v_fma_f32 v13, v2, v13, -v3
	v_fma_mix_f32 v13, v13, v185, v186 op_sel_hi:[0,1,0]
	v_lshrrev_b32_e32 v186, 4, v187
	v_mov_b32_e32 v187, 0
	v_and_b32_e32 v186, 0xf0f0f0f, v186
	v_dot4c_i32_i8 v187, v186, v17
	v_cvt_f32_i32_e32 v186, v187
	v_mov_b32_e32 v187, 0
	v_fma_f32 v186, v2, v186, -v3
	v_fma_mix_f32 v13, v186, v185, v13 op_sel_hi:[0,1,0]
	global_load_dword v185, v[183:184], off offset:20
	s_waitcnt vmcnt(0)
	v_and_b32_e32 v186, 0xf0f0f0f, v185
	v_lshrrev_b32_e32 v185, 4, v185
	v_dot4c_i32_i8 v187, v186, v18
	global_load_ushort v186, v[181:182], off offset:-36
	global_load_dword v188, v[183:184], off offset:28
	v_and_b32_e32 v185, 0xf0f0f0f, v185
	v_cvt_f32_i32_e32 v187, v187
	v_fma_f32 v187, v4, v187, -v5
	s_waitcnt vmcnt(1)
	v_fma_mix_f32 v13, v187, v186, v13 op_sel_hi:[0,1,0]
	s_waitcnt vmcnt(0)
	v_and_b32_e32 v189, 0xf0f0f0f, v188
	v_mov_b32_e32 v187, 0
	v_dot4c_i32_i8 v190, v189, v19
	v_dot4c_i32_i8 v187, v185, v20
	v_lshrrev_b32_e32 v185, 4, v188
	v_mov_b32_e32 v188, 0
	v_cvt_f32_i32_e32 v189, v190
	v_mov_b32_e32 v190, 0
	v_and_b32_e32 v185, 0xf0f0f0f, v185
	v_fma_f32 v189, v4, v189, -v5
	v_dot4c_i32_i8 v188, v185, v21
	v_cvt_f32_i32_e32 v185, v187
	v_fma_mix_f32 v13, v189, v186, v13 op_sel_hi:[0,1,0]
	v_cvt_f32_i32_e32 v187, v188
	v_fma_f32 v185, v4, v185, -v5
	v_fma_f32 v187, v4, v187, -v5
	v_fma_mix_f32 v13, v185, v186, v13 op_sel_hi:[0,1,0]
	global_load_dword v185, v[183:184], off offset:38
	v_fma_mix_f32 v13, v187, v186, v13 op_sel_hi:[0,1,0]
	v_mov_b32_e32 v187, 0
	s_waitcnt vmcnt(0)
	v_and_b32_e32 v186, 0xf0f0f0f, v185
	v_lshrrev_b32_e32 v185, 4, v185
	v_dot4c_i32_i8 v187, v186, v22
	global_load_ushort v186, v[181:182], off offset:-18
	global_load_dword v188, v[183:184], off offset:46
	v_and_b32_e32 v185, 0xf0f0f0f, v185
	v_cvt_f32_i32_e32 v187, v187
	v_fma_f32 v187, v6, v187, -v7
	s_waitcnt vmcnt(1)
	v_fma_mix_f32 v13, v187, v186, v13 op_sel_hi:[0,1,0]
	s_waitcnt vmcnt(0)
	v_and_b32_e32 v189, 0xf0f0f0f, v188
	v_mov_b32_e32 v187, 0
	v_dot4c_i32_i8 v190, v189, v23
	v_dot4c_i32_i8 v187, v185, v24
	v_lshrrev_b32_e32 v185, 4, v188
	v_mov_b32_e32 v188, 0
	v_cvt_f32_i32_e32 v189, v190
	v_and_b32_e32 v185, 0xf0f0f0f, v185
	v_fma_f32 v189, v6, v189, -v7
	v_dot4c_i32_i8 v188, v185, v25
	v_cvt_f32_i32_e32 v185, v187
	v_fma_mix_f32 v13, v189, v186, v13 op_sel_hi:[0,1,0]
	v_cvt_f32_i32_e32 v187, v188
	v_fma_f32 v185, v6, v185, -v7
	v_fma_f32 v187, v6, v187, -v7
	v_fma_mix_f32 v13, v185, v186, v13 op_sel_hi:[0,1,0]
	global_load_dword v185, v[183:184], off offset:56
	global_load_ushort v181, v[181:182], off
	global_load_dword v182, v[183:184], off offset:64
	v_mov_b32_e32 v184, 0
	v_fma_mix_f32 v13, v187, v186, v13 op_sel_hi:[0,1,0]
	v_mov_b32_e32 v187, 0
	s_waitcnt vmcnt(2)
	v_and_b32_e32 v186, 0xf0f0f0f, v185
	s_waitcnt vmcnt(0)
	v_and_b32_e32 v183, 0xf0f0f0f, v182
	v_lshrrev_b32_e32 v182, 4, v182
	v_dot4c_i32_i8 v187, v186, v26
	v_dot4c_i32_i8 v184, v183, v27
	v_and_b32_e32 v182, 0xf0f0f0f, v182
	v_cvt_f32_i32_e32 v183, v187
	v_cvt_f32_i32_e32 v184, v184
	v_fma_f32 v183, v8, v183, -v9
	v_fma_f32 v184, v8, v184, -v9
	v_fma_mix_f32 v13, v183, v181, v13 op_sel_hi:[0,1,0]
	v_lshrrev_b32_e32 v183, 4, v185
	v_fma_mix_f32 v13, v184, v181, v13 op_sel_hi:[0,1,0]
	v_and_b32_e32 v183, 0xf0f0f0f, v183
	v_mov_b32_e32 v184, 0
	v_dot4c_i32_i8 v184, v183, v28
	v_mov_b32_e32 v183, 0
	v_dot4c_i32_i8 v183, v182, v29
	v_cvt_f32_i32_e32 v182, v184
	v_cvt_f32_i32_e32 v183, v183
	v_fma_f32 v182, v8, v182, -v9
	v_fma_f32 v183, v8, v183, -v9
	v_fma_mix_f32 v13, v182, v181, v13 op_sel_hi:[0,1,0]
	v_fma_mix_f32 v13, v183, v181, v13 op_sel_hi:[0,1,0]
	ds_bpermute_b32 v181, v38, v13
	s_waitcnt lgkmcnt(0)
	v_add_f32_e32 v13, v13, v181
	s_cbranch_vccz .LBB14_13
; %bb.12:                               ;   in Loop: Header=BB14_11 Depth=1
	global_load_ushort v181, v[30:31], off offset:-2
	s_waitcnt vmcnt(0)
	v_fma_mix_f32 v13, v33, v181, v13 op_sel_hi:[0,1,0]
.LBB14_13:                              ;   in Loop: Header=BB14_11 Depth=1
	v_add_co_u32 v181, vcc_lo, v48, s13
	v_add_co_ci_u32_e64 v182, null, 0, v49, vcc_lo
	v_add_co_u32 v183, vcc_lo, v44, s13
	v_add_co_ci_u32_e64 v184, null, 0, v45, vcc_lo
	v_mov_b32_e32 v187, 0
	v_mov_b32_e32 v190, 0
	;; [unrolled: 1-line block ×3, first 2 shown]
	s_clause 0x1
	global_load_dword v185, v[183:184], off offset:2
	global_load_dword v188, v[183:184], off offset:10
	s_andn2_b32 vcc_lo, exec_lo, s25
	s_waitcnt vmcnt(1)
	v_and_b32_e32 v186, 0xf0f0f0f, v185
	s_waitcnt vmcnt(0)
	v_and_b32_e32 v189, 0xf0f0f0f, v188
	v_lshrrev_b32_e32 v185, 4, v185
	v_dot4c_i32_i8 v187, v186, v14
	global_load_ushort v186, v[181:182], off
	v_dot4c_i32_i8 v190, v189, v15
	v_and_b32_e32 v185, 0xf0f0f0f, v185
	v_cvt_f32_i32_e32 v187, v187
	v_cvt_f32_i32_e32 v189, v190
	v_fma_f32 v187, v2, v187, -v3
	v_fma_f32 v189, v2, v189, -v3
	s_waitcnt vmcnt(0)
	v_fma_mix_f32 v187, v187, v186, 0 op_sel_hi:[0,1,0]
	v_fma_mix_f32 v187, v189, v186, v187 op_sel_hi:[0,1,0]
	v_mov_b32_e32 v189, 0
	v_dot4c_i32_i8 v189, v185, v16
	v_cvt_f32_i32_e32 v185, v189
	v_fma_f32 v185, v2, v185, -v3
	v_fma_mix_f32 v185, v185, v186, v187 op_sel_hi:[0,1,0]
	v_lshrrev_b32_e32 v187, 4, v188
	v_mov_b32_e32 v188, 0
	v_and_b32_e32 v187, 0xf0f0f0f, v187
	v_dot4c_i32_i8 v188, v187, v17
	v_cvt_f32_i32_e32 v187, v188
	v_mov_b32_e32 v188, 0
	v_fma_f32 v187, v2, v187, -v3
	v_fma_mix_f32 v185, v187, v186, v185 op_sel_hi:[0,1,0]
	global_load_dword v186, v[183:184], off offset:20
	s_waitcnt vmcnt(0)
	v_and_b32_e32 v187, 0xf0f0f0f, v186
	v_lshrrev_b32_e32 v186, 4, v186
	v_dot4c_i32_i8 v188, v187, v18
	global_load_ushort v187, v[181:182], off offset:18
	global_load_dword v189, v[183:184], off offset:28
	v_and_b32_e32 v186, 0xf0f0f0f, v186
	v_cvt_f32_i32_e32 v188, v188
	v_fma_f32 v188, v4, v188, -v5
	s_waitcnt vmcnt(1)
	v_fma_mix_f32 v185, v188, v187, v185 op_sel_hi:[0,1,0]
	s_waitcnt vmcnt(0)
	v_and_b32_e32 v190, 0xf0f0f0f, v189
	v_mov_b32_e32 v188, 0
	v_dot4c_i32_i8 v191, v190, v19
	v_dot4c_i32_i8 v188, v186, v20
	v_lshrrev_b32_e32 v186, 4, v189
	v_mov_b32_e32 v189, 0
	v_cvt_f32_i32_e32 v190, v191
	v_mov_b32_e32 v191, 0
	v_and_b32_e32 v186, 0xf0f0f0f, v186
	v_fma_f32 v190, v4, v190, -v5
	v_dot4c_i32_i8 v189, v186, v21
	v_cvt_f32_i32_e32 v186, v188
	v_fma_mix_f32 v185, v190, v187, v185 op_sel_hi:[0,1,0]
	v_cvt_f32_i32_e32 v188, v189
	v_fma_f32 v186, v4, v186, -v5
	v_fma_f32 v188, v4, v188, -v5
	v_fma_mix_f32 v185, v186, v187, v185 op_sel_hi:[0,1,0]
	global_load_dword v186, v[183:184], off offset:38
	v_fma_mix_f32 v185, v188, v187, v185 op_sel_hi:[0,1,0]
	v_mov_b32_e32 v188, 0
	s_waitcnt vmcnt(0)
	v_and_b32_e32 v187, 0xf0f0f0f, v186
	v_lshrrev_b32_e32 v186, 4, v186
	v_dot4c_i32_i8 v188, v187, v22
	global_load_ushort v187, v[181:182], off offset:36
	global_load_dword v189, v[183:184], off offset:46
	v_and_b32_e32 v186, 0xf0f0f0f, v186
	v_cvt_f32_i32_e32 v188, v188
	v_fma_f32 v188, v6, v188, -v7
	s_waitcnt vmcnt(1)
	v_fma_mix_f32 v185, v188, v187, v185 op_sel_hi:[0,1,0]
	s_waitcnt vmcnt(0)
	v_and_b32_e32 v190, 0xf0f0f0f, v189
	v_mov_b32_e32 v188, 0
	v_dot4c_i32_i8 v191, v190, v23
	v_dot4c_i32_i8 v188, v186, v24
	v_lshrrev_b32_e32 v186, 4, v189
	v_mov_b32_e32 v189, 0
	v_cvt_f32_i32_e32 v190, v191
	v_and_b32_e32 v186, 0xf0f0f0f, v186
	v_fma_f32 v190, v6, v190, -v7
	v_dot4c_i32_i8 v189, v186, v25
	v_cvt_f32_i32_e32 v186, v188
	v_fma_mix_f32 v185, v190, v187, v185 op_sel_hi:[0,1,0]
	v_cvt_f32_i32_e32 v188, v189
	v_fma_f32 v186, v6, v186, -v7
	v_fma_f32 v188, v6, v188, -v7
	v_fma_mix_f32 v185, v186, v187, v185 op_sel_hi:[0,1,0]
	global_load_dword v186, v[183:184], off offset:56
	global_load_ushort v181, v[181:182], off offset:54
	global_load_dword v182, v[183:184], off offset:64
	v_mov_b32_e32 v184, 0
	v_fma_mix_f32 v185, v188, v187, v185 op_sel_hi:[0,1,0]
	v_mov_b32_e32 v188, 0
	s_waitcnt vmcnt(2)
	v_and_b32_e32 v187, 0xf0f0f0f, v186
	s_waitcnt vmcnt(0)
	v_and_b32_e32 v183, 0xf0f0f0f, v182
	v_lshrrev_b32_e32 v182, 4, v182
	v_dot4c_i32_i8 v188, v187, v26
	v_dot4c_i32_i8 v184, v183, v27
	v_and_b32_e32 v182, 0xf0f0f0f, v182
	v_cvt_f32_i32_e32 v183, v188
	v_cvt_f32_i32_e32 v184, v184
	v_fma_f32 v183, v8, v183, -v9
	v_fma_f32 v184, v8, v184, -v9
	v_fma_mix_f32 v183, v183, v181, v185 op_sel_hi:[0,1,0]
	v_mov_b32_e32 v185, 0
	v_fma_mix_f32 v183, v184, v181, v183 op_sel_hi:[0,1,0]
	v_lshrrev_b32_e32 v184, 4, v186
	v_and_b32_e32 v184, 0xf0f0f0f, v184
	v_dot4c_i32_i8 v185, v184, v28
	v_mov_b32_e32 v184, 0
	v_dot4c_i32_i8 v184, v182, v29
	v_cvt_f32_i32_e32 v182, v185
	v_cvt_f32_i32_e32 v184, v184
	v_fma_f32 v182, v8, v182, -v9
	v_fma_f32 v184, v8, v184, -v9
	v_fma_mix_f32 v182, v182, v181, v183 op_sel_hi:[0,1,0]
	v_fma_mix_f32 v181, v184, v181, v182 op_sel_hi:[0,1,0]
	ds_bpermute_b32 v182, v38, v181
	s_waitcnt lgkmcnt(0)
	v_add_f32_e32 v181, v181, v182
	s_cbranch_vccnz .LBB14_15
; %bb.14:                               ;   in Loop: Header=BB14_11 Depth=1
	global_load_ushort v182, v[30:31], off
	s_waitcnt vmcnt(0)
	v_fma_mix_f32 v181, v33, v182, v181 op_sel_hi:[0,1,0]
.LBB14_15:                              ;   in Loop: Header=BB14_11 Depth=1
	v_add_f32_e32 v182, 0x40051340, v13
	v_add_f32_e32 v183, 0x40051340, v181
	v_cndmask_b32_e64 v13, v181, v13, s1
	v_add_co_u32 v198, s3, v170, s24
	v_add_co_ci_u32_e64 v199, null, 0, v171, s3
	v_max3_f32 v184, v12, v182, v183
	v_add_co_u32 v182, vcc_lo, v52, s24
	v_add_co_ci_u32_e64 v183, null, 0, v53, vcc_lo
	ds_bpermute_b32 v185, v39, v184
	v_add_co_u32 v208, s8, v166, s24
	global_load_dword v201, v[182:183], off offset:2
	v_add_co_u32 v182, vcc_lo, v46, s24
	v_add_co_ci_u32_e64 v209, null, 0, v167, s8
	v_add_co_u32 v210, s9, v164, s24
	v_add_co_u32 v213, s10, v162, s24
	v_add_co_ci_u32_e64 v211, null, 0, v165, s9
	v_add_co_ci_u32_e64 v214, null, 0, v163, s10
	s_add_i32 s18, s18, s36
	s_cmp_ge_i32 s18, s34
	s_waitcnt lgkmcnt(0)
	v_max_f32_e32 v185, v185, v185
	v_max_f32_e32 v184, v184, v185
	ds_bpermute_b32 v183, v40, v184
	s_waitcnt lgkmcnt(0)
	v_max_f32_e32 v185, v183, v183
	v_add_co_ci_u32_e64 v183, null, 0, v47, vcc_lo
	v_max_f32_e32 v184, v184, v185
	global_load_ushort v203, v[182:183], off
	ds_bpermute_b32 v182, v41, v184
	s_waitcnt lgkmcnt(0)
	v_max_f32_e32 v183, v182, v182
	v_add_co_u32 v182, vcc_lo, v178, s24
	v_max_f32_e32 v184, v184, v183
	v_add_co_ci_u32_e64 v183, null, 0, v179, vcc_lo
	ds_bpermute_b32 v185, v42, v184
	global_load_dword v190, v[182:183], off offset:2
	s_waitcnt lgkmcnt(0)
	v_max_f32_e32 v182, v185, v185
	v_max_f32_e32 v181, v184, v182
	v_add_co_u32 v182, vcc_lo, v54, s24
	v_add_co_ci_u32_e64 v183, null, 0, v55, vcc_lo
	v_sub_f32_e32 v13, v13, v181
	v_sub_f32_e32 v12, v12, v181
	global_load_ushort v191, v[182:183], off
	v_mul_f32_e32 v182, 0x3fb8aa3b, v13
	v_cmp_nlt_f32_e64 s2, 0x42b17218, v13
	v_fma_f32 v183, 0x3fb8aa3b, v13, -v182
	v_rndne_f32_e32 v184, v182
	v_fmac_f32_e32 v183, 0x32a5705f, v13
	v_sub_f32_e32 v182, v182, v184
	v_cvt_i32_f32_e32 v184, v184
	v_add_f32_e32 v182, v182, v183
	v_exp_f32_e32 v185, v182
	v_add_co_u32 v182, vcc_lo, v174, s24
	v_add_co_ci_u32_e64 v183, null, 0, v175, vcc_lo
	v_cmp_ngt_f32_e32 vcc_lo, 0xc2ce8ed0, v13
	global_load_dword v187, v[182:183], off offset:2
	v_ldexp_f32 v184, v185, v184
	v_cndmask_b32_e32 v13, 0, v184, vcc_lo
	v_add_co_u32 v183, vcc_lo, v176, s24
	v_add_co_ci_u32_e64 v184, null, 0, v177, vcc_lo
	v_cndmask_b32_e64 v182, 0x7f800000, v13, s2
	v_add_co_u32 v196, s2, v172, s24
	global_load_ushort v205, v[183:184], off
	v_add_co_ci_u32_e64 v197, null, 0, v173, s2
	v_cvt_f16_f32_e32 v13, v182
	v_add_co_u32 v206, vcc_lo, v168, s24
	v_add_co_ci_u32_e64 v207, null, 0, v169, vcc_lo
	ds_write_b16 v35, v13
	ds_read_b128 v[192:195], v43
	global_load_ushort v217, v[196:197], off
	global_load_dword v218, v[198:199], off offset:2
	global_load_ushort v207, v[206:207], off
	global_load_dword v212, v[208:209], off offset:2
	;; [unrolled: 2-line block ×3, first 2 shown]
	v_add_co_u32 v198, vcc_lo, v156, s24
	v_add_co_u32 v208, s2, v154, s24
	v_add_co_ci_u32_e64 v199, null, 0, v157, vcc_lo
	v_mul_f32_e32 v183, 0x3fb8aa3b, v12
	v_add_co_ci_u32_e64 v209, null, 0, v155, s2
	v_add_co_u32 v214, s3, v152, s24
	v_rndne_f32_e32 v206, v183
	v_add_co_ci_u32_e64 v215, null, 0, v153, s3
	s_waitcnt lgkmcnt(0)
	v_mul_u32_u24_sdwa v204, v192, v180 dst_sel:DWORD dst_unused:UNUSED_PAD src0_sel:WORD_0 src1_sel:DWORD
	v_mul_u32_u24_sdwa v216, v192, v180 dst_sel:DWORD dst_unused:UNUSED_PAD src0_sel:WORD_1 src1_sel:DWORD
	v_add_co_u32 v192, s11, v160, s24
	v_mul_u32_u24_sdwa v186, v194, v180 dst_sel:DWORD dst_unused:UNUSED_PAD src0_sel:WORD_0 src1_sel:DWORD
	v_mul_u32_u24_sdwa v184, v194, v180 dst_sel:DWORD dst_unused:UNUSED_PAD src0_sel:WORD_1 src1_sel:DWORD
	v_add_co_u32 v194, s12, v158, s24
	v_mul_u32_u24_sdwa v188, v193, v180 dst_sel:DWORD dst_unused:UNUSED_PAD src0_sel:WORD_0 src1_sel:DWORD
	v_mul_u32_u24_sdwa v185, v193, v180 dst_sel:DWORD dst_unused:UNUSED_PAD src0_sel:WORD_1 src1_sel:DWORD
	v_add_co_ci_u32_e64 v193, null, 0, v161, s11
	v_mul_u32_u24_sdwa v13, v195, v180 dst_sel:DWORD dst_unused:UNUSED_PAD src0_sel:WORD_0 src1_sel:DWORD
	v_mul_u32_u24_sdwa v189, v195, v180 dst_sel:DWORD dst_unused:UNUSED_PAD src0_sel:WORD_1 src1_sel:DWORD
	v_add_co_ci_u32_e64 v195, null, 0, v159, s12
	global_load_ushort v196, v[192:193], off
	global_load_dword v197, v[194:195], off offset:2
	global_load_ushort v198, v[198:199], off
	global_load_dword v200, v[208:209], off offset:2
	v_fma_f32 v199, 0x3fb8aa3b, v12, -v183
	v_add_co_u32 v193, s8, v150, s24
	v_sub_f32_e32 v183, v183, v206
	v_add_co_ci_u32_e64 v194, null, 0, v151, s8
	v_fmac_f32_e32 v199, 0x32a5705f, v12
	v_add_co_u32 v208, vcc_lo, v148, s24
	global_load_ushort v192, v[214:215], off
	global_load_dword v202, v[193:194], off offset:2
	v_add_co_u32 v194, s2, v146, s24
	v_add_f32_e32 v183, v183, v199
	v_add_co_ci_u32_e64 v209, null, 0, v149, vcc_lo
	v_add_co_ci_u32_e64 v195, null, 0, v147, s2
	v_exp_f32_e32 v183, v183
	global_load_ushort v193, v[208:209], off
	global_load_dword v195, v[194:195], off offset:2
	v_add_co_u32 v208, vcc_lo, v144, s24
	v_add_co_ci_u32_e64 v209, null, 0, v145, vcc_lo
	v_cvt_i32_f32_e32 v206, v206
	v_cmp_nlt_f32_e64 s2, 0x42b17218, v12
	global_load_ushort v194, v[208:209], off
	v_add_co_u32 v208, vcc_lo, v142, s24
	v_add_co_ci_u32_e64 v209, null, 0, v143, vcc_lo
	v_ldexp_f32 v183, v183, v206
	v_cmp_ngt_f32_e32 vcc_lo, 0xc2ce8ed0, v12
	global_load_dword v199, v[208:209], off offset:2
	v_cndmask_b32_e32 v12, 0, v183, vcc_lo
	v_cndmask_b32_e64 v183, 0x7f800000, v12, s2
	v_cvt_f16_f32_e32 v12, v183
	v_fma_f32 v37, v37, v183, v182
	v_mul_u32_u24_sdwa v12, v12, v180 dst_sel:DWORD dst_unused:UNUSED_PAD src0_sel:WORD_0 src1_sel:DWORD
	v_pk_mul_f16 v206, v11, v12
	v_pk_mul_f16 v12, v10, v12
	s_waitcnt vmcnt(21)
	v_pk_lshrrev_b16 v10, 8, v201 op_sel:[1,0] op_sel_hi:[0,0]
	v_lshrrev_b32_e32 v11, 16, v10
	v_cvt_f16_i16_sdwa v10, sext(v10) dst_sel:DWORD dst_unused:UNUSED_PAD src0_sel:BYTE_0
	v_cvt_f16_i16_sdwa v11, sext(v11) dst_sel:DWORD dst_unused:UNUSED_PAD src0_sel:BYTE_0
	v_pack_b32_f16 v10, v10, v11
	v_pk_lshrrev_b16 v11, 8, v201 op_sel:[1,1] op_sel_hi:[0,1]
	v_lshrrev_b32_e32 v201, 16, v11
	v_cvt_f16_i16_sdwa v11, sext(v11) dst_sel:DWORD dst_unused:UNUSED_PAD src0_sel:BYTE_0
	v_cvt_f16_i16_sdwa v201, sext(v201) dst_sel:DWORD dst_unused:UNUSED_PAD src0_sel:BYTE_0
	v_pack_b32_f16 v11, v11, v201
	s_waitcnt vmcnt(20)
	v_mul_u32_u24_e32 v201, 0x10001, v203
	v_pk_mul_f16 v208, v10, v201
	v_add_co_u32 v10, vcc_lo, v140, s24
	v_pk_mul_f16 v201, v11, v201
	v_add_co_ci_u32_e64 v11, null, 0, v141, vcc_lo
	v_pk_fma_f16 v209, v208, v204, v206
	v_pk_fma_f16 v12, v201, v204, v12
	global_load_ushort v203, v[10:11], off
	v_add_co_u32 v10, vcc_lo, v138, s24
	v_add_co_ci_u32_e64 v11, null, 0, v139, vcc_lo
	global_load_dword v206, v[10:11], off offset:2
	v_add_co_u32 v10, vcc_lo, v136, s24
	v_add_co_ci_u32_e64 v11, null, 0, v137, vcc_lo
	global_load_ushort v204, v[10:11], off
	s_waitcnt vmcnt(22)
	v_pk_lshrrev_b16 v10, 8, v190 op_sel:[1,0] op_sel_hi:[0,0]
	v_lshrrev_b32_e32 v11, 16, v10
	v_cvt_f16_i16_sdwa v10, sext(v10) dst_sel:DWORD dst_unused:UNUSED_PAD src0_sel:BYTE_0
	v_cvt_f16_i16_sdwa v11, sext(v11) dst_sel:DWORD dst_unused:UNUSED_PAD src0_sel:BYTE_0
	v_pack_b32_f16 v10, v10, v11
	v_pk_lshrrev_b16 v11, 8, v190 op_sel:[1,1] op_sel_hi:[0,1]
	v_lshrrev_b32_e32 v190, 16, v11
	v_cvt_f16_i16_sdwa v11, sext(v11) dst_sel:DWORD dst_unused:UNUSED_PAD src0_sel:BYTE_0
	v_cvt_f16_i16_sdwa v190, sext(v190) dst_sel:DWORD dst_unused:UNUSED_PAD src0_sel:BYTE_0
	v_pack_b32_f16 v11, v11, v190
	s_waitcnt vmcnt(21)
	v_mul_u32_u24_e32 v190, 0x10001, v191
	v_pk_mul_f16 v191, v10, v190
	v_add_co_u32 v10, vcc_lo, v134, s24
	v_pk_mul_f16 v190, v11, v190
	v_add_co_ci_u32_e64 v11, null, 0, v135, vcc_lo
	v_pk_fma_f16 v191, v191, v216, v209
	v_pk_fma_f16 v12, v190, v216, v12
	global_load_dword v208, v[10:11], off offset:2
	v_add_co_u32 v10, vcc_lo, v132, s24
	v_add_co_ci_u32_e64 v11, null, 0, v133, vcc_lo
	global_load_ushort v209, v[10:11], off
	v_add_co_u32 v10, vcc_lo, v130, s24
	v_add_co_ci_u32_e64 v11, null, 0, v131, vcc_lo
	global_load_dword v211, v[10:11], off offset:2
	s_waitcnt vmcnt(23)
	v_pk_lshrrev_b16 v10, 8, v187 op_sel:[1,0] op_sel_hi:[0,0]
	v_lshrrev_b32_e32 v11, 16, v10
	v_cvt_f16_i16_sdwa v10, sext(v10) dst_sel:DWORD dst_unused:UNUSED_PAD src0_sel:BYTE_0
	v_cvt_f16_i16_sdwa v11, sext(v11) dst_sel:DWORD dst_unused:UNUSED_PAD src0_sel:BYTE_0
	v_pack_b32_f16 v10, v10, v11
	v_pk_lshrrev_b16 v11, 8, v187 op_sel:[1,1] op_sel_hi:[0,1]
	v_lshrrev_b32_e32 v187, 16, v11
	v_cvt_f16_i16_sdwa v11, sext(v11) dst_sel:DWORD dst_unused:UNUSED_PAD src0_sel:BYTE_0
	s_waitcnt vmcnt(19)
	v_mul_u32_u24_e32 v207, 0x10001, v207
	v_cvt_f16_i16_sdwa v187, sext(v187) dst_sel:DWORD dst_unused:UNUSED_PAD src0_sel:BYTE_0
	v_pack_b32_f16 v11, v11, v187
	v_mul_u32_u24_e32 v187, 0x10001, v205
	v_pk_mul_f16 v190, v10, v187
	v_add_co_u32 v10, vcc_lo, v128, s24
	v_pk_mul_f16 v187, v11, v187
	v_add_co_ci_u32_e64 v11, null, 0, v129, vcc_lo
	v_pk_fma_f16 v190, v190, v188, v191
	v_pk_fma_f16 v12, v187, v188, v12
	global_load_ushort v201, v[10:11], off
	v_add_co_u32 v10, vcc_lo, v126, s24
	v_add_co_ci_u32_e64 v11, null, 0, v127, vcc_lo
	global_load_dword v205, v[10:11], off offset:2
	v_add_co_u32 v10, vcc_lo, v124, s24
	v_add_co_ci_u32_e64 v11, null, 0, v125, vcc_lo
	s_waitcnt vmcnt(17)
	v_mul_u32_u24_e32 v196, 0x10001, v196
	global_load_ushort v188, v[10:11], off
	v_pk_lshrrev_b16 v10, 8, v218 op_sel:[1,0] op_sel_hi:[0,0]
	s_waitcnt vmcnt(16)
	v_mul_u32_u24_e32 v198, 0x10001, v198
	v_lshrrev_b32_e32 v11, 16, v10
	v_cvt_f16_i16_sdwa v10, sext(v10) dst_sel:DWORD dst_unused:UNUSED_PAD src0_sel:BYTE_0
	v_cvt_f16_i16_sdwa v11, sext(v11) dst_sel:DWORD dst_unused:UNUSED_PAD src0_sel:BYTE_0
	v_pack_b32_f16 v10, v10, v11
	v_pk_lshrrev_b16 v11, 8, v218 op_sel:[1,1] op_sel_hi:[0,1]
	s_waitcnt vmcnt(12)
	v_mul_u32_u24_e32 v193, 0x10001, v193
	v_lshrrev_b32_e32 v187, 16, v11
	v_cvt_f16_i16_sdwa v11, sext(v11) dst_sel:DWORD dst_unused:UNUSED_PAD src0_sel:BYTE_0
	v_cvt_f16_i16_sdwa v187, sext(v187) dst_sel:DWORD dst_unused:UNUSED_PAD src0_sel:BYTE_0
	s_waitcnt vmcnt(10)
	v_mul_u32_u24_e32 v194, 0x10001, v194
	v_pack_b32_f16 v11, v11, v187
	v_mul_u32_u24_e32 v187, 0x10001, v217
	v_pk_mul_f16 v214, v10, v187
	v_add_co_u32 v10, vcc_lo, v122, s24
	v_pk_mul_f16 v187, v11, v187
	v_add_co_ci_u32_e64 v11, null, 0, v123, vcc_lo
	v_pk_fma_f16 v214, v214, v185, v190
	v_pk_fma_f16 v12, v187, v185, v12
	global_load_dword v191, v[10:11], off offset:2
	v_add_co_u32 v10, vcc_lo, v120, s24
	v_add_co_ci_u32_e64 v11, null, 0, v121, vcc_lo
	global_load_ushort v190, v[10:11], off
	v_add_co_u32 v10, vcc_lo, v118, s24
	v_add_co_ci_u32_e64 v11, null, 0, v119, vcc_lo
	global_load_dword v187, v[10:11], off offset:2
	v_add_co_u32 v10, vcc_lo, v114, s24
	v_add_co_ci_u32_e64 v11, null, 0, v115, vcc_lo
	global_load_dword v185, v[10:11], off offset:2
	v_pk_lshrrev_b16 v10, 8, v212 op_sel:[1,0] op_sel_hi:[0,0]
	v_lshrrev_b32_e32 v11, 16, v10
	v_cvt_f16_i16_sdwa v10, sext(v10) dst_sel:DWORD dst_unused:UNUSED_PAD src0_sel:BYTE_0
	v_cvt_f16_i16_sdwa v11, sext(v11) dst_sel:DWORD dst_unused:UNUSED_PAD src0_sel:BYTE_0
	v_pack_b32_f16 v10, v10, v11
	v_pk_lshrrev_b16 v11, 8, v212 op_sel:[1,1] op_sel_hi:[0,1]
	v_pk_mul_f16 v10, v10, v207
	v_lshrrev_b32_e32 v212, 16, v11
	v_cvt_f16_i16_sdwa v11, sext(v11) dst_sel:DWORD dst_unused:UNUSED_PAD src0_sel:BYTE_0
	v_cvt_f16_i16_sdwa v212, sext(v212) dst_sel:DWORD dst_unused:UNUSED_PAD src0_sel:BYTE_0
	v_pack_b32_f16 v11, v11, v212
	v_pk_lshrrev_b16 v212, 8, v213 op_sel:[1,0] op_sel_hi:[0,0]
	v_pk_lshrrev_b16 v213, 8, v213 op_sel:[1,1] op_sel_hi:[0,1]
	v_pk_mul_f16 v11, v11, v207
	v_lshrrev_b32_e32 v215, 16, v212
	v_cvt_f16_i16_sdwa v212, sext(v212) dst_sel:DWORD dst_unused:UNUSED_PAD src0_sel:BYTE_0
	v_mul_u32_u24_e32 v207, 0x10001, v210
	v_pk_fma_f16 v12, v11, v186, v12
	v_cvt_f16_i16_sdwa v215, sext(v215) dst_sel:DWORD dst_unused:UNUSED_PAD src0_sel:BYTE_0
	v_pack_b32_f16 v212, v212, v215
	v_lshrrev_b32_e32 v215, 16, v213
	v_cvt_f16_i16_sdwa v213, sext(v213) dst_sel:DWORD dst_unused:UNUSED_PAD src0_sel:BYTE_0
	v_pk_mul_f16 v210, v212, v207
	v_cvt_f16_i16_sdwa v215, sext(v215) dst_sel:DWORD dst_unused:UNUSED_PAD src0_sel:BYTE_0
	v_pk_fma_f16 v212, v10, v186, v214
	v_add_co_u32 v10, vcc_lo, v116, s24
	v_add_co_ci_u32_e64 v11, null, 0, v117, vcc_lo
	v_pack_b32_f16 v213, v213, v215
	v_pk_fma_f16 v210, v210, v184, v212
	v_add_co_u32 v212, vcc_lo, v110, s24
	global_load_ushort v186, v[10:11], off
	v_pk_mul_f16 v207, v213, v207
	v_pk_lshrrev_b16 v10, 8, v197 op_sel:[1,1] op_sel_hi:[0,1]
	v_add_co_ci_u32_e64 v213, null, 0, v111, vcc_lo
	v_pk_fma_f16 v12, v207, v184, v12
	v_pk_lshrrev_b16 v207, 8, v197 op_sel:[1,0] op_sel_hi:[0,0]
	global_load_dword v184, v[212:213], off offset:2
	v_lshrrev_b32_e32 v11, 16, v207
	v_cvt_f16_i16_sdwa v197, sext(v207) dst_sel:DWORD dst_unused:UNUSED_PAD src0_sel:BYTE_0
	v_lshrrev_b32_e32 v207, 16, v10
	v_cvt_f16_i16_sdwa v10, sext(v10) dst_sel:DWORD dst_unused:UNUSED_PAD src0_sel:BYTE_0
	v_cvt_f16_i16_sdwa v11, sext(v11) dst_sel:DWORD dst_unused:UNUSED_PAD src0_sel:BYTE_0
	;; [unrolled: 1-line block ×3, first 2 shown]
	v_pack_b32_f16 v11, v197, v11
	v_pk_lshrrev_b16 v197, 8, v200 op_sel:[1,0] op_sel_hi:[0,0]
	v_pack_b32_f16 v10, v10, v207
	v_pk_lshrrev_b16 v200, 8, v200 op_sel:[1,1] op_sel_hi:[0,1]
	v_pk_mul_f16 v11, v11, v196
	v_lshrrev_b32_e32 v207, 16, v197
	v_cvt_f16_i16_sdwa v197, sext(v197) dst_sel:DWORD dst_unused:UNUSED_PAD src0_sel:BYTE_0
	v_pk_mul_f16 v10, v10, v196
	v_cvt_f16_i16_sdwa v207, sext(v207) dst_sel:DWORD dst_unused:UNUSED_PAD src0_sel:BYTE_0
	v_pack_b32_f16 v197, v197, v207
	v_lshrrev_b32_e32 v207, 16, v200
	v_cvt_f16_i16_sdwa v200, sext(v200) dst_sel:DWORD dst_unused:UNUSED_PAD src0_sel:BYTE_0
	v_pk_mul_f16 v197, v197, v198
	v_cvt_f16_i16_sdwa v207, sext(v207) dst_sel:DWORD dst_unused:UNUSED_PAD src0_sel:BYTE_0
	v_pack_b32_f16 v200, v200, v207
	v_pk_lshrrev_b16 v207, 8, v202 op_sel:[1,0] op_sel_hi:[0,0]
	v_pk_lshrrev_b16 v202, 8, v202 op_sel:[1,1] op_sel_hi:[0,1]
	v_pk_mul_f16 v198, v200, v198
	v_lshrrev_b32_e32 v212, 16, v207
	v_lshrrev_b32_e32 v196, 16, v202
	v_cvt_f16_i16_sdwa v202, sext(v202) dst_sel:DWORD dst_unused:UNUSED_PAD src0_sel:BYTE_0
	v_cvt_f16_i16_sdwa v207, sext(v207) dst_sel:DWORD dst_unused:UNUSED_PAD src0_sel:BYTE_0
	v_pk_lshrrev_b16 v200, 8, v195 op_sel:[1,0] op_sel_hi:[0,0]
	v_cvt_f16_i16_sdwa v212, sext(v212) dst_sel:DWORD dst_unused:UNUSED_PAD src0_sel:BYTE_0
	v_cvt_f16_i16_sdwa v196, sext(v196) dst_sel:DWORD dst_unused:UNUSED_PAD src0_sel:BYTE_0
	v_pk_lshrrev_b16 v195, 8, v195 op_sel:[1,1] op_sel_hi:[0,1]
	v_pack_b32_f16 v207, v207, v212
	v_pack_b32_f16 v202, v202, v196
	v_pk_fma_f16 v196, v11, v13, v210
	v_pk_fma_f16 v210, v10, v13, v12
	ds_read_b128 v[10:13], v43 offset:16
	v_pk_fma_f16 v212, v197, v189, v196
	v_lshrrev_b32_e32 v196, 16, v200
	v_pk_fma_f16 v198, v198, v189, v210
	v_mul_u32_u24_e32 v189, 0x10001, v192
	v_cvt_f16_i16_sdwa v200, sext(v200) dst_sel:DWORD dst_unused:UNUSED_PAD src0_sel:BYTE_0
	s_waitcnt vmcnt(15)
	v_pk_lshrrev_b16 v210, 8, v199 op_sel:[1,0] op_sel_hi:[0,0]
	v_cvt_f16_i16_sdwa v213, sext(v196) dst_sel:DWORD dst_unused:UNUSED_PAD src0_sel:BYTE_0
	v_add_co_u32 v196, vcc_lo, v112, s24
	v_add_co_ci_u32_e64 v197, null, 0, v113, vcc_lo
	v_pk_mul_f16 v207, v207, v189
	v_pk_mul_f16 v202, v202, v189
	v_pack_b32_f16 v192, v200, v213
	global_load_ushort v189, v[196:197], off
	v_lshrrev_b32_e32 v196, 16, v195
	v_pk_lshrrev_b16 v197, 8, v199 op_sel:[1,1] op_sel_hi:[0,1]
	s_waitcnt lgkmcnt(0)
	v_mul_u32_u24_sdwa v200, v10, v180 dst_sel:DWORD dst_unused:UNUSED_PAD src0_sel:WORD_0 src1_sel:DWORD
	v_cvt_f16_i16_sdwa v195, sext(v195) dst_sel:DWORD dst_unused:UNUSED_PAD src0_sel:BYTE_0
	v_lshrrev_b32_e32 v199, 16, v210
	v_cvt_f16_i16_sdwa v196, sext(v196) dst_sel:DWORD dst_unused:UNUSED_PAD src0_sel:BYTE_0
	v_pk_mul_f16 v192, v192, v193
	v_pk_fma_f16 v198, v202, v200, v198
	v_lshrrev_b32_e32 v202, 16, v197
	v_pk_fma_f16 v207, v207, v200, v212
	v_pack_b32_f16 v195, v195, v196
	v_cvt_f16_i16_sdwa v200, sext(v210) dst_sel:DWORD dst_unused:UNUSED_PAD src0_sel:BYTE_0
	v_cvt_f16_i16_sdwa v199, sext(v199) dst_sel:DWORD dst_unused:UNUSED_PAD src0_sel:BYTE_0
	;; [unrolled: 1-line block ×4, first 2 shown]
	v_pk_mul_f16 v193, v195, v193
	s_waitcnt vmcnt(14)
	v_pk_lshrrev_b16 v195, 8, v206 op_sel:[1,0] op_sel_hi:[0,0]
	v_mul_u32_u24_sdwa v10, v10, v180 dst_sel:DWORD dst_unused:UNUSED_PAD src0_sel:WORD_1 src1_sel:DWORD
	v_pack_b32_f16 v199, v200, v199
	v_pack_b32_f16 v196, v196, v197
	v_pk_lshrrev_b16 v197, 8, v206 op_sel:[1,1] op_sel_hi:[0,1]
	v_lshrrev_b32_e32 v202, 16, v195
	v_pk_fma_f16 v192, v192, v10, v207
	v_pk_mul_f16 v199, v199, v194
	v_pk_fma_f16 v10, v193, v10, v198
	v_pk_mul_f16 v193, v196, v194
	v_lshrrev_b32_e32 v194, 16, v197
	v_cvt_f16_i16_sdwa v195, sext(v195) dst_sel:DWORD dst_unused:UNUSED_PAD src0_sel:BYTE_0
	v_cvt_f16_i16_sdwa v196, sext(v202) dst_sel:DWORD dst_unused:UNUSED_PAD src0_sel:BYTE_0
	v_mul_u32_u24_sdwa v200, v11, v180 dst_sel:DWORD dst_unused:UNUSED_PAD src0_sel:WORD_0 src1_sel:DWORD
	v_cvt_f16_i16_sdwa v197, sext(v197) dst_sel:DWORD dst_unused:UNUSED_PAD src0_sel:BYTE_0
	v_cvt_f16_i16_sdwa v194, sext(v194) dst_sel:DWORD dst_unused:UNUSED_PAD src0_sel:BYTE_0
	v_mul_u32_u24_e32 v198, 0x10001, v203
	v_pack_b32_f16 v195, v195, v196
	v_pk_fma_f16 v192, v199, v200, v192
	v_mul_u32_u24_sdwa v11, v11, v180 dst_sel:DWORD dst_unused:UNUSED_PAD src0_sel:WORD_1 src1_sel:DWORD
	s_waitcnt vmcnt(12)
	v_pk_lshrrev_b16 v196, 8, v208 op_sel:[1,0] op_sel_hi:[0,0]
	v_pack_b32_f16 v194, v197, v194
	v_pk_mul_f16 v195, v195, v198
	v_pk_lshrrev_b16 v197, 8, v208 op_sel:[1,1] op_sel_hi:[0,1]
	v_pk_fma_f16 v10, v193, v200, v10
	v_lshrrev_b32_e32 v193, 16, v196
	v_pk_mul_f16 v194, v194, v198
	v_pk_fma_f16 v192, v195, v11, v192
	v_cvt_f16_i16_sdwa v195, sext(v196) dst_sel:DWORD dst_unused:UNUSED_PAD src0_sel:BYTE_0
	s_waitcnt vmcnt(10)
	v_pk_lshrrev_b16 v196, 8, v211 op_sel:[1,0] op_sel_hi:[0,0]
	v_lshrrev_b32_e32 v198, 16, v197
	v_cvt_f16_i16_sdwa v193, sext(v193) dst_sel:DWORD dst_unused:UNUSED_PAD src0_sel:BYTE_0
	v_pk_fma_f16 v194, v194, v11, v10
	v_cvt_f16_i16_sdwa v197, sext(v197) dst_sel:DWORD dst_unused:UNUSED_PAD src0_sel:BYTE_0
	v_lshrrev_b32_e32 v11, 16, v196
	v_cvt_f16_i16_sdwa v198, sext(v198) dst_sel:DWORD dst_unused:UNUSED_PAD src0_sel:BYTE_0
	v_mul_u32_u24_e32 v10, 0x10001, v204
	v_pack_b32_f16 v193, v195, v193
	v_cvt_f16_i16_sdwa v196, sext(v196) dst_sel:DWORD dst_unused:UNUSED_PAD src0_sel:BYTE_0
	v_cvt_f16_i16_sdwa v11, sext(v11) dst_sel:DWORD dst_unused:UNUSED_PAD src0_sel:BYTE_0
	v_pack_b32_f16 v197, v197, v198
	v_mul_u32_u24_sdwa v198, v12, v180 dst_sel:DWORD dst_unused:UNUSED_PAD src0_sel:WORD_0 src1_sel:DWORD
	v_pk_mul_f16 v193, v193, v10
	v_mul_u32_u24_e32 v200, 0x10001, v209
	v_pack_b32_f16 v11, v196, v11
	v_pk_mul_f16 v197, v197, v10
	v_add_co_u32 v10, vcc_lo, v106, s24
	v_pk_fma_f16 v192, v193, v198, v192
	v_mul_u32_u24_sdwa v12, v12, v180 dst_sel:DWORD dst_unused:UNUSED_PAD src0_sel:WORD_1 src1_sel:DWORD
	v_pk_mul_f16 v193, v11, v200
	v_add_co_ci_u32_e64 v11, null, 0, v107, vcc_lo
	v_pk_lshrrev_b16 v195, 8, v211 op_sel:[1,1] op_sel_hi:[0,1]
	v_pk_fma_f16 v194, v197, v198, v194
	v_pk_fma_f16 v197, v193, v12, v192
	global_load_dword v192, v[10:11], off offset:2
	v_add_co_u32 v10, vcc_lo, v108, s24
	v_lshrrev_b32_e32 v199, 16, v195
	v_cvt_f16_i16_sdwa v195, sext(v195) dst_sel:DWORD dst_unused:UNUSED_PAD src0_sel:BYTE_0
	v_add_co_ci_u32_e64 v11, null, 0, v109, vcc_lo
	v_mul_u32_u24_sdwa v203, v13, v180 dst_sel:DWORD dst_unused:UNUSED_PAD src0_sel:WORD_0 src1_sel:DWORD
	v_cvt_f16_i16_sdwa v196, sext(v199) dst_sel:DWORD dst_unused:UNUSED_PAD src0_sel:BYTE_0
	s_waitcnt vmcnt(10)
	v_mul_u32_u24_e32 v199, 0x10001, v201
	v_pack_b32_f16 v195, v195, v196
	s_waitcnt vmcnt(9)
	v_pk_lshrrev_b16 v196, 8, v205 op_sel:[1,0] op_sel_hi:[0,0]
	v_pk_mul_f16 v195, v195, v200
	v_lshrrev_b32_e32 v193, 16, v196
	v_pk_fma_f16 v12, v195, v12, v194
	v_cvt_f16_i16_sdwa v194, sext(v196) dst_sel:DWORD dst_unused:UNUSED_PAD src0_sel:BYTE_0
	v_pk_lshrrev_b16 v196, 8, v205 op_sel:[1,1] op_sel_hi:[0,1]
	s_waitcnt vmcnt(8)
	v_mul_u32_u24_e32 v188, 0x10001, v188
	v_cvt_f16_i16_sdwa v195, sext(v193) dst_sel:DWORD dst_unused:UNUSED_PAD src0_sel:BYTE_0
	global_load_ushort v193, v[10:11], off
	v_add_co_u32 v10, vcc_lo, v102, s24
	v_add_co_ci_u32_e64 v11, null, 0, v103, vcc_lo
	v_pack_b32_f16 v200, v194, v195
	v_lshrrev_b32_e32 v198, 16, v196
	v_cvt_f16_i16_sdwa v201, sext(v196) dst_sel:DWORD dst_unused:UNUSED_PAD src0_sel:BYTE_0
	global_load_dword v194, v[10:11], off offset:2
	v_add_co_u32 v10, vcc_lo, v104, s24
	v_add_co_ci_u32_e64 v11, null, 0, v105, vcc_lo
	v_add_co_u32 v195, vcc_lo, v98, s24
	v_add_co_ci_u32_e64 v196, null, 0, v99, vcc_lo
	v_pk_mul_f16 v204, v200, v199
	global_load_ushort v200, v[10:11], off
	global_load_dword v202, v[195:196], off offset:2
	v_add_co_u32 v10, vcc_lo, v100, s24
	v_add_co_ci_u32_e64 v11, null, 0, v101, vcc_lo
	v_cvt_f16_i16_sdwa v198, sext(v198) dst_sel:DWORD dst_unused:UNUSED_PAD src0_sel:BYTE_0
	v_pk_fma_f16 v197, v204, v203, v197
	global_load_ushort v204, v[10:11], off
	v_add_co_u32 v10, vcc_lo, v94, s24
	v_pack_b32_f16 v198, v201, v198
	v_add_co_ci_u32_e64 v11, null, 0, v95, vcc_lo
	v_pk_mul_f16 v198, v198, v199
	global_load_dword v205, v[10:11], off offset:2
	v_add_co_u32 v10, vcc_lo, v96, s24
	v_add_co_ci_u32_e64 v11, null, 0, v97, vcc_lo
	v_pk_fma_f16 v198, v198, v203, v12
	s_waitcnt vmcnt(13)
	v_pk_lshrrev_b16 v195, 8, v191 op_sel:[1,0] op_sel_hi:[0,0]
	v_pk_lshrrev_b16 v191, 8, v191 op_sel:[1,1] op_sel_hi:[0,1]
	v_lshrrev_b32_e32 v196, 16, v195
	v_lshrrev_b32_e32 v199, 16, v191
	v_cvt_f16_i16_sdwa v191, sext(v191) dst_sel:DWORD dst_unused:UNUSED_PAD src0_sel:BYTE_0
	v_cvt_f16_i16_sdwa v201, sext(v195) dst_sel:DWORD dst_unused:UNUSED_PAD src0_sel:BYTE_0
	v_add_co_u32 v195, vcc_lo, v90, s24
	v_cvt_f16_i16_sdwa v199, sext(v199) dst_sel:DWORD dst_unused:UNUSED_PAD src0_sel:BYTE_0
	v_cvt_f16_i16_sdwa v206, sext(v196) dst_sel:DWORD dst_unused:UNUSED_PAD src0_sel:BYTE_0
	v_add_co_ci_u32_e64 v196, null, 0, v91, vcc_lo
	v_pack_b32_f16 v191, v191, v199
	v_pack_b32_f16 v201, v201, v206
	global_load_ushort v206, v[10:11], off
	global_load_dword v210, v[195:196], off offset:2
	v_add_co_u32 v10, vcc_lo, v92, s24
	v_mul_u32_u24_sdwa v199, v13, v180 dst_sel:DWORD dst_unused:UNUSED_PAD src0_sel:WORD_1 src1_sel:DWORD
	v_pk_mul_f16 v191, v191, v188
	v_add_co_ci_u32_e64 v11, null, 0, v93, vcc_lo
	v_add_co_u32 v195, vcc_lo, v86, s24
	v_pk_mul_f16 v201, v201, v188
	v_add_co_ci_u32_e64 v196, null, 0, v87, vcc_lo
	v_pk_fma_f16 v203, v191, v199, v198
	s_waitcnt vmcnt(13)
	v_pk_lshrrev_b16 v191, 8, v187 op_sel:[1,0] op_sel_hi:[0,0]
	global_load_ushort v188, v[10:11], off
	ds_read_b128 v[10:13], v43 offset:32
	v_pk_fma_f16 v201, v201, v199, v197
	v_mul_u32_u24_e32 v199, 0x10001, v190
	global_load_dword v190, v[195:196], off offset:2
	v_add_co_u32 v195, vcc_lo, v88, s24
	v_add_co_ci_u32_e64 v196, null, 0, v89, vcc_lo
	v_add_co_u32 v197, vcc_lo, v82, s24
	v_lshrrev_b32_e32 v207, 16, v191
	v_pk_lshrrev_b16 v208, 8, v187 op_sel:[1,1] op_sel_hi:[0,1]
	v_add_co_ci_u32_e64 v198, null, 0, v83, vcc_lo
	v_cvt_f16_i16_sdwa v209, sext(v191) dst_sel:DWORD dst_unused:UNUSED_PAD src0_sel:BYTE_0
	v_cvt_f16_i16_sdwa v207, sext(v207) dst_sel:DWORD dst_unused:UNUSED_PAD src0_sel:BYTE_0
	v_lshrrev_b32_e32 v211, 16, v208
	global_load_ushort v187, v[195:196], off
	global_load_dword v191, v[197:198], off offset:2
	v_add_co_u32 v195, vcc_lo, v84, s24
	v_add_co_ci_u32_e64 v196, null, 0, v85, vcc_lo
	v_add_co_u32 v197, vcc_lo, v78, s24
	v_add_co_ci_u32_e64 v198, null, 0, v79, vcc_lo
	v_pack_b32_f16 v207, v209, v207
	v_cvt_f16_i16_sdwa v208, sext(v208) dst_sel:DWORD dst_unused:UNUSED_PAD src0_sel:BYTE_0
	v_cvt_f16_i16_sdwa v209, sext(v211) dst_sel:DWORD dst_unused:UNUSED_PAD src0_sel:BYTE_0
	global_load_ushort v196, v[195:196], off
	global_load_dword v195, v[197:198], off offset:2
	v_add_co_u32 v197, vcc_lo, v80, s24
	v_add_co_ci_u32_e64 v198, null, 0, v81, vcc_lo
	v_pack_b32_f16 v208, v208, v209
	s_waitcnt lgkmcnt(0)
	v_mul_u32_u24_sdwa v209, v10, v180 dst_sel:DWORD dst_unused:UNUSED_PAD src0_sel:WORD_0 src1_sel:DWORD
	v_pk_mul_f16 v207, v207, v199
	global_load_ushort v197, v[197:198], off
	v_add_co_u32 v198, vcc_lo, v74, s24
	v_pk_mul_f16 v208, v208, v199
	s_waitcnt vmcnt(19)
	v_pk_lshrrev_b16 v211, 8, v185 op_sel:[1,0] op_sel_hi:[0,0]
	v_add_co_ci_u32_e64 v199, null, 0, v75, vcc_lo
	v_pk_fma_f16 v212, v207, v209, v201
	v_add_co_u32 v207, vcc_lo, v76, s24
	v_pk_fma_f16 v209, v208, v209, v203
	v_add_co_ci_u32_e64 v208, null, 0, v77, vcc_lo
	v_lshrrev_b32_e32 v201, 16, v211
	v_pk_lshrrev_b16 v213, 8, v185 op_sel:[1,1] op_sel_hi:[0,1]
	v_cvt_f16_i16_sdwa v203, sext(v211) dst_sel:DWORD dst_unused:UNUSED_PAD src0_sel:BYTE_0
	global_load_ushort v185, v[207:208], off
	v_add_co_u32 v207, vcc_lo, v70, s24
	v_cvt_f16_i16_sdwa v201, sext(v201) dst_sel:DWORD dst_unused:UNUSED_PAD src0_sel:BYTE_0
	global_load_dword v198, v[198:199], off offset:2
	v_lshrrev_b32_e32 v199, 16, v213
	v_add_co_ci_u32_e64 v208, null, 0, v71, vcc_lo
	v_pack_b32_f16 v211, v203, v201
	v_cvt_f16_i16_sdwa v201, sext(v213) dst_sel:DWORD dst_unused:UNUSED_PAD src0_sel:BYTE_0
	v_cvt_f16_i16_sdwa v203, sext(v199) dst_sel:DWORD dst_unused:UNUSED_PAD src0_sel:BYTE_0
	global_load_dword v199, v[207:208], off offset:2
	v_add_co_u32 v207, vcc_lo, v72, s24
	v_add_co_ci_u32_e64 v208, null, 0, v73, vcc_lo
	v_pack_b32_f16 v213, v201, v203
	s_waitcnt vmcnt(21)
	v_mul_u32_u24_e32 v186, 0x10001, v186
	v_mul_u32_u24_sdwa v10, v10, v180 dst_sel:DWORD dst_unused:UNUSED_PAD src0_sel:WORD_1 src1_sel:DWORD
	global_load_ushort v201, v[207:208], off
	v_add_co_u32 v207, vcc_lo, v66, s24
	v_add_co_ci_u32_e64 v208, null, 0, v67, vcc_lo
	v_pk_mul_f16 v211, v211, v186
	v_pk_mul_f16 v213, v213, v186
	global_load_dword v203, v[207:208], off offset:2
	v_add_co_u32 v207, vcc_lo, v68, s24
	v_add_co_ci_u32_e64 v208, null, 0, v69, vcc_lo
	v_pk_fma_f16 v211, v211, v10, v212
	v_pk_fma_f16 v212, v213, v10, v209
	global_load_ushort v186, v[207:208], off
	v_add_co_u32 v207, vcc_lo, v62, s24
	v_add_co_ci_u32_e64 v208, null, 0, v63, vcc_lo
	global_load_dword v207, v[207:208], off offset:2
	v_add_co_u32 v208, vcc_lo, v58, s24
	v_add_co_ci_u32_e64 v209, null, 0, v59, vcc_lo
	global_load_dword v10, v[208:209], off offset:2
	s_waitcnt vmcnt(25)
	v_pk_lshrrev_b16 v208, 8, v184 op_sel:[1,0] op_sel_hi:[0,0]
	v_pk_lshrrev_b16 v184, 8, v184 op_sel:[1,1] op_sel_hi:[0,1]
	v_lshrrev_b32_e32 v209, 16, v208
	v_cvt_f16_i16_sdwa v208, sext(v208) dst_sel:DWORD dst_unused:UNUSED_PAD src0_sel:BYTE_0
	v_cvt_f16_i16_sdwa v209, sext(v209) dst_sel:DWORD dst_unused:UNUSED_PAD src0_sel:BYTE_0
	v_pack_b32_f16 v208, v208, v209
	v_lshrrev_b32_e32 v209, 16, v184
	v_cvt_f16_i16_sdwa v184, sext(v184) dst_sel:DWORD dst_unused:UNUSED_PAD src0_sel:BYTE_0
	v_cvt_f16_i16_sdwa v209, sext(v209) dst_sel:DWORD dst_unused:UNUSED_PAD src0_sel:BYTE_0
	v_pack_b32_f16 v184, v184, v209
	s_waitcnt vmcnt(24)
	v_mul_u32_u24_e32 v189, 0x10001, v189
	v_pk_mul_f16 v208, v208, v189
	v_pk_mul_f16 v184, v184, v189
	v_mul_u32_u24_sdwa v189, v11, v180 dst_sel:DWORD dst_unused:UNUSED_PAD src0_sel:WORD_0 src1_sel:DWORD
	v_mul_u32_u24_sdwa v11, v11, v180 dst_sel:DWORD dst_unused:UNUSED_PAD src0_sel:WORD_1 src1_sel:DWORD
	v_pk_fma_f16 v211, v208, v189, v211
	v_add_co_u32 v208, vcc_lo, v64, s24
	v_add_co_ci_u32_e64 v209, null, 0, v65, vcc_lo
	v_pk_fma_f16 v184, v184, v189, v212
	global_load_ushort v189, v[208:209], off
	v_add_co_u32 v208, vcc_lo, v60, s24
	v_add_co_ci_u32_e64 v209, null, 0, v61, vcc_lo
	v_add_co_u32 v44, vcc_lo, v44, s19
	v_add_co_ci_u32_e64 v45, null, 0, v45, vcc_lo
	global_load_ushort v212, v[208:209], off
	v_add_co_u32 v30, vcc_lo, v30, s14
	v_add_co_ci_u32_e64 v31, null, s15, v31, vcc_lo
	v_add_co_u32 v46, vcc_lo, v46, s26
	v_add_co_ci_u32_e64 v47, null, 0, v47, vcc_lo
	;; [unrolled: 2-line block ×11, first 2 shown]
	s_waitcnt vmcnt(25)
	v_pk_lshrrev_b16 v208, 8, v192 op_sel:[1,0] op_sel_hi:[0,0]
	v_pk_lshrrev_b16 v192, 8, v192 op_sel:[1,1] op_sel_hi:[0,1]
	v_add_co_u32 v66, vcc_lo, v66, s26
	v_add_co_ci_u32_e64 v67, null, 0, v67, vcc_lo
	v_lshrrev_b32_e32 v209, 16, v208
	v_cvt_f16_i16_sdwa v208, sext(v208) dst_sel:DWORD dst_unused:UNUSED_PAD src0_sel:BYTE_0
	v_add_co_u32 v68, vcc_lo, v68, s26
	v_add_co_ci_u32_e64 v69, null, 0, v69, vcc_lo
	v_cvt_f16_i16_sdwa v209, sext(v209) dst_sel:DWORD dst_unused:UNUSED_PAD src0_sel:BYTE_0
	v_add_co_u32 v70, vcc_lo, v70, s26
	v_add_co_ci_u32_e64 v71, null, 0, v71, vcc_lo
	v_pack_b32_f16 v208, v208, v209
	v_lshrrev_b32_e32 v209, 16, v192
	v_cvt_f16_i16_sdwa v192, sext(v192) dst_sel:DWORD dst_unused:UNUSED_PAD src0_sel:BYTE_0
	v_add_co_u32 v72, vcc_lo, v72, s26
	v_add_co_ci_u32_e64 v73, null, 0, v73, vcc_lo
	v_cvt_f16_i16_sdwa v209, sext(v209) dst_sel:DWORD dst_unused:UNUSED_PAD src0_sel:BYTE_0
	v_add_co_u32 v74, vcc_lo, v74, s26
	v_add_co_ci_u32_e64 v75, null, 0, v75, vcc_lo
	v_pack_b32_f16 v192, v192, v209
	s_waitcnt vmcnt(24)
	v_mul_u32_u24_e32 v193, 0x10001, v193
	v_add_co_u32 v76, vcc_lo, v76, s26
	v_add_co_ci_u32_e64 v77, null, 0, v77, vcc_lo
	v_pk_mul_f16 v208, v208, v193
	v_pk_mul_f16 v192, v192, v193
	v_add_co_u32 v78, vcc_lo, v78, s26
	v_add_co_ci_u32_e64 v79, null, 0, v79, vcc_lo
	v_pk_fma_f16 v193, v208, v11, v211
	v_pk_fma_f16 v11, v192, v11, v184
	s_waitcnt vmcnt(23)
	v_pk_lshrrev_b16 v184, 8, v194 op_sel:[1,0] op_sel_hi:[0,0]
	v_pk_lshrrev_b16 v194, 8, v194 op_sel:[1,1] op_sel_hi:[0,1]
	v_add_co_u32 v80, vcc_lo, v80, s26
	s_waitcnt vmcnt(22)
	v_mul_u32_u24_e32 v200, 0x10001, v200
	v_lshrrev_b32_e32 v192, 16, v184
	v_cvt_f16_i16_sdwa v184, sext(v184) dst_sel:DWORD dst_unused:UNUSED_PAD src0_sel:BYTE_0
	v_add_co_ci_u32_e64 v81, null, 0, v81, vcc_lo
	v_add_co_u32 v82, vcc_lo, v82, s26
	v_cvt_f16_i16_sdwa v192, sext(v192) dst_sel:DWORD dst_unused:UNUSED_PAD src0_sel:BYTE_0
	s_waitcnt vmcnt(20)
	v_mul_u32_u24_e32 v204, 0x10001, v204
	v_add_co_ci_u32_e64 v83, null, 0, v83, vcc_lo
	v_add_co_u32 v84, vcc_lo, v84, s26
	v_pack_b32_f16 v184, v184, v192
	v_lshrrev_b32_e32 v192, 16, v194
	v_cvt_f16_i16_sdwa v194, sext(v194) dst_sel:DWORD dst_unused:UNUSED_PAD src0_sel:BYTE_0
	v_add_co_ci_u32_e64 v85, null, 0, v85, vcc_lo
	v_pk_mul_f16 v184, v184, v200
	v_cvt_f16_i16_sdwa v192, sext(v192) dst_sel:DWORD dst_unused:UNUSED_PAD src0_sel:BYTE_0
	v_add_co_u32 v86, vcc_lo, v86, s26
	v_add_co_ci_u32_e64 v87, null, 0, v87, vcc_lo
	v_pack_b32_f16 v192, v194, v192
	v_mul_u32_u24_sdwa v194, v12, v180 dst_sel:DWORD dst_unused:UNUSED_PAD src0_sel:WORD_0 src1_sel:DWORD
	v_mul_u32_u24_sdwa v12, v12, v180 dst_sel:DWORD dst_unused:UNUSED_PAD src0_sel:WORD_1 src1_sel:DWORD
	v_add_co_u32 v88, vcc_lo, v88, s26
	v_pk_mul_f16 v192, v192, v200
	v_pk_lshrrev_b16 v200, 8, v202 op_sel:[1,0] op_sel_hi:[0,0]
	v_pk_fma_f16 v184, v184, v194, v193
	v_pk_lshrrev_b16 v202, 8, v202 op_sel:[1,1] op_sel_hi:[0,1]
	v_add_co_ci_u32_e64 v89, null, 0, v89, vcc_lo
	v_lshrrev_b32_e32 v193, 16, v200
	v_cvt_f16_i16_sdwa v200, sext(v200) dst_sel:DWORD dst_unused:UNUSED_PAD src0_sel:BYTE_0
	v_pk_fma_f16 v11, v192, v194, v11
	s_waitcnt vmcnt(19)
	v_pk_lshrrev_b16 v194, 8, v205 op_sel:[1,0] op_sel_hi:[0,0]
	v_add_co_u32 v90, vcc_lo, v90, s26
	v_cvt_f16_i16_sdwa v193, sext(v193) dst_sel:DWORD dst_unused:UNUSED_PAD src0_sel:BYTE_0
	v_add_co_ci_u32_e64 v91, null, 0, v91, vcc_lo
	v_add_co_u32 v92, vcc_lo, v92, s26
	v_pack_b32_f16 v193, v200, v193
	v_lshrrev_b32_e32 v200, 16, v202
	v_cvt_f16_i16_sdwa v202, sext(v202) dst_sel:DWORD dst_unused:UNUSED_PAD src0_sel:BYTE_0
	v_add_co_ci_u32_e64 v93, null, 0, v93, vcc_lo
	v_pk_mul_f16 v193, v193, v204
	v_cvt_f16_i16_sdwa v200, sext(v200) dst_sel:DWORD dst_unused:UNUSED_PAD src0_sel:BYTE_0
	v_add_co_u32 v94, vcc_lo, v94, s26
	v_add_co_ci_u32_e64 v95, null, 0, v95, vcc_lo
	v_pack_b32_f16 v192, v202, v200
	v_pk_lshrrev_b16 v200, 8, v205 op_sel:[1,1] op_sel_hi:[0,1]
	v_lshrrev_b32_e32 v202, 16, v194
	v_pk_fma_f16 v184, v193, v12, v184
	s_waitcnt vmcnt(16)
	v_mul_u32_u24_e32 v188, 0x10001, v188
	v_pk_mul_f16 v192, v192, v204
	v_lshrrev_b32_e32 v193, 16, v200
	v_mul_u32_u24_sdwa v204, v13, v180 dst_sel:DWORD dst_unused:UNUSED_PAD src0_sel:WORD_0 src1_sel:DWORD
	v_mul_u32_u24_sdwa v13, v13, v180 dst_sel:DWORD dst_unused:UNUSED_PAD src0_sel:WORD_1 src1_sel:DWORD
	v_add_co_u32 v96, vcc_lo, v96, s26
	v_pk_fma_f16 v11, v192, v12, v11
	v_cvt_f16_i16_sdwa v12, sext(v194) dst_sel:DWORD dst_unused:UNUSED_PAD src0_sel:BYTE_0
	v_cvt_f16_i16_sdwa v192, sext(v202) dst_sel:DWORD dst_unused:UNUSED_PAD src0_sel:BYTE_0
	;; [unrolled: 1-line block ×4, first 2 shown]
	v_pk_lshrrev_b16 v200, 8, v210 op_sel:[1,0] op_sel_hi:[0,0]
	v_mul_u32_u24_e32 v202, 0x10001, v206
	v_pack_b32_f16 v12, v12, v192
	v_pk_lshrrev_b16 v192, 8, v210 op_sel:[1,1] op_sel_hi:[0,1]
	v_pack_b32_f16 v193, v194, v193
	v_lshrrev_b32_e32 v194, 16, v200
	v_cvt_f16_i16_sdwa v200, sext(v200) dst_sel:DWORD dst_unused:UNUSED_PAD src0_sel:BYTE_0
	v_pk_mul_f16 v12, v12, v202
	v_lshrrev_b32_e32 v205, 16, v192
	v_pk_mul_f16 v193, v193, v202
	v_cvt_f16_i16_sdwa v194, sext(v194) dst_sel:DWORD dst_unused:UNUSED_PAD src0_sel:BYTE_0
	v_cvt_f16_i16_sdwa v192, sext(v192) dst_sel:DWORD dst_unused:UNUSED_PAD src0_sel:BYTE_0
	v_pk_fma_f16 v12, v12, v204, v184
	v_cvt_f16_i16_sdwa v202, sext(v205) dst_sel:DWORD dst_unused:UNUSED_PAD src0_sel:BYTE_0
	v_pk_fma_f16 v11, v193, v204, v11
	v_pack_b32_f16 v184, v200, v194
	s_waitcnt vmcnt(15)
	v_pk_lshrrev_b16 v193, 8, v190 op_sel:[1,0] op_sel_hi:[0,0]
	ds_read_b128 v[208:211], v43 offset:48
	v_pack_b32_f16 v192, v192, v202
	v_pk_lshrrev_b16 v190, 8, v190 op_sel:[1,1] op_sel_hi:[0,1]
	v_pk_mul_f16 v184, v184, v188
	s_waitcnt vmcnt(14)
	v_mul_u32_u24_e32 v187, 0x10001, v187
	v_add_co_ci_u32_e64 v97, null, 0, v97, vcc_lo
	v_pk_mul_f16 v188, v192, v188
	v_lshrrev_b32_e32 v192, 16, v193
	v_pk_fma_f16 v12, v184, v13, v12
	v_lshrrev_b32_e32 v184, 16, v190
	v_cvt_f16_i16_sdwa v190, sext(v190) dst_sel:DWORD dst_unused:UNUSED_PAD src0_sel:BYTE_0
	v_pk_fma_f16 v11, v188, v13, v11
	v_cvt_f16_i16_sdwa v13, sext(v193) dst_sel:DWORD dst_unused:UNUSED_PAD src0_sel:BYTE_0
	v_cvt_f16_i16_sdwa v188, sext(v192) dst_sel:DWORD dst_unused:UNUSED_PAD src0_sel:BYTE_0
	;; [unrolled: 1-line block ×3, first 2 shown]
	s_waitcnt vmcnt(13)
	v_pk_lshrrev_b16 v192, 8, v191 op_sel:[1,0] op_sel_hi:[0,0]
	v_add_co_u32 v98, vcc_lo, v98, s26
	v_pack_b32_f16 v13, v13, v188
	v_pk_lshrrev_b16 v188, 8, v191 op_sel:[1,1] op_sel_hi:[0,1]
	v_pack_b32_f16 v184, v190, v184
	v_lshrrev_b32_e32 v191, 16, v192
	s_waitcnt lgkmcnt(0)
	v_mul_u32_u24_sdwa v190, v208, v180 dst_sel:DWORD dst_unused:UNUSED_PAD src0_sel:WORD_0 src1_sel:DWORD
	v_pk_mul_f16 v13, v13, v187
	v_lshrrev_b32_e32 v193, 16, v188
	v_pk_mul_f16 v184, v184, v187
	v_cvt_f16_i16_sdwa v187, sext(v192) dst_sel:DWORD dst_unused:UNUSED_PAD src0_sel:BYTE_0
	v_cvt_f16_i16_sdwa v191, sext(v191) dst_sel:DWORD dst_unused:UNUSED_PAD src0_sel:BYTE_0
	;; [unrolled: 1-line block ×4, first 2 shown]
	s_waitcnt vmcnt(11)
	v_pk_lshrrev_b16 v193, 8, v195 op_sel:[1,0] op_sel_hi:[0,0]
	v_pk_fma_f16 v12, v13, v190, v12
	v_mul_u32_u24_e32 v13, 0x10001, v196
	v_pack_b32_f16 v187, v187, v191
	v_pack_b32_f16 v188, v188, v192
	v_pk_fma_f16 v11, v184, v190, v11
	v_lshrrev_b32_e32 v190, 16, v193
	v_mul_u32_u24_sdwa v184, v208, v180 dst_sel:DWORD dst_unused:UNUSED_PAD src0_sel:WORD_1 src1_sel:DWORD
	v_pk_mul_f16 v187, v187, v13
	v_pk_mul_f16 v13, v188, v13
	v_cvt_f16_i16_sdwa v188, sext(v193) dst_sel:DWORD dst_unused:UNUSED_PAD src0_sel:BYTE_0
	v_pk_lshrrev_b16 v191, 8, v195 op_sel:[1,1] op_sel_hi:[0,1]
	v_cvt_f16_i16_sdwa v190, sext(v190) dst_sel:DWORD dst_unused:UNUSED_PAD src0_sel:BYTE_0
	v_pk_fma_f16 v12, v187, v184, v12
	v_pk_fma_f16 v11, v13, v184, v11
	s_waitcnt vmcnt(10)
	v_mul_u32_u24_e32 v13, 0x10001, v197
	v_lshrrev_b32_e32 v184, 16, v191
	v_pack_b32_f16 v187, v188, v190
	s_waitcnt vmcnt(8)
	v_pk_lshrrev_b16 v188, 8, v198 op_sel:[1,0] op_sel_hi:[0,0]
	v_cvt_f16_i16_sdwa v190, sext(v191) dst_sel:DWORD dst_unused:UNUSED_PAD src0_sel:BYTE_0
	v_pk_lshrrev_b16 v191, 8, v198 op_sel:[1,1] op_sel_hi:[0,1]
	v_cvt_f16_i16_sdwa v184, sext(v184) dst_sel:DWORD dst_unused:UNUSED_PAD src0_sel:BYTE_0
	v_add_co_ci_u32_e64 v99, null, 0, v99, vcc_lo
	v_lshrrev_b32_e32 v193, 16, v188
	v_lshrrev_b32_e32 v194, 16, v191
	v_add_co_u32 v100, vcc_lo, v100, s26
	v_add_co_ci_u32_e64 v101, null, 0, v101, vcc_lo
	v_add_co_u32 v102, vcc_lo, v102, s26
	v_add_co_ci_u32_e64 v103, null, 0, v103, vcc_lo
	v_add_co_u32 v104, vcc_lo, v104, s26
	v_mul_u32_u24_sdwa v192, v209, v180 dst_sel:DWORD dst_unused:UNUSED_PAD src0_sel:WORD_0 src1_sel:DWORD
	v_pk_mul_f16 v187, v187, v13
	v_pack_b32_f16 v184, v190, v184
	v_cvt_f16_i16_sdwa v188, sext(v188) dst_sel:DWORD dst_unused:UNUSED_PAD src0_sel:BYTE_0
	v_cvt_f16_i16_sdwa v190, sext(v193) dst_sel:DWORD dst_unused:UNUSED_PAD src0_sel:BYTE_0
	;; [unrolled: 1-line block ×4, first 2 shown]
	v_add_co_ci_u32_e64 v105, null, 0, v105, vcc_lo
	v_add_co_u32 v106, vcc_lo, v106, s26
	v_add_co_ci_u32_e64 v107, null, 0, v107, vcc_lo
	v_add_co_u32 v108, vcc_lo, v108, s26
	v_pk_mul_f16 v13, v184, v13
	v_pk_fma_f16 v12, v187, v192, v12
	v_mul_u32_u24_e32 v184, 0x10001, v185
	v_pack_b32_f16 v185, v188, v190
	v_pack_b32_f16 v187, v191, v193
	v_add_co_ci_u32_e64 v109, null, 0, v109, vcc_lo
	v_add_co_u32 v110, vcc_lo, v110, s26
	v_add_co_ci_u32_e64 v111, null, 0, v111, vcc_lo
	v_add_co_u32 v112, vcc_lo, v112, s26
	;; [unrolled: 2-line block ×3, first 2 shown]
	v_pk_fma_f16 v11, v13, v192, v11
	v_mul_u32_u24_sdwa v13, v209, v180 dst_sel:DWORD dst_unused:UNUSED_PAD src0_sel:WORD_1 src1_sel:DWORD
	s_waitcnt vmcnt(7)
	v_pk_lshrrev_b16 v188, 8, v199 op_sel:[1,0] op_sel_hi:[0,0]
	v_pk_mul_f16 v185, v185, v184
	v_pk_mul_f16 v184, v187, v184
	v_add_co_ci_u32_e64 v115, null, 0, v115, vcc_lo
	v_add_co_u32 v116, vcc_lo, v116, s26
	v_add_co_ci_u32_e64 v117, null, 0, v117, vcc_lo
	v_add_co_u32 v118, vcc_lo, v118, s26
	v_lshrrev_b32_e32 v187, 16, v188
	v_pk_fma_f16 v11, v184, v13, v11
	v_pk_lshrrev_b16 v184, 8, v199 op_sel:[1,1] op_sel_hi:[0,1]
	v_add_co_ci_u32_e64 v119, null, 0, v119, vcc_lo
	v_add_co_u32 v120, vcc_lo, v120, s26
	v_add_co_ci_u32_e64 v121, null, 0, v121, vcc_lo
	v_add_co_u32 v122, vcc_lo, v122, s26
	;; [unrolled: 2-line block ×3, first 2 shown]
	v_pk_fma_f16 v12, v185, v13, v12
	v_cvt_f16_i16_sdwa v13, sext(v188) dst_sel:DWORD dst_unused:UNUSED_PAD src0_sel:BYTE_0
	v_cvt_f16_i16_sdwa v185, sext(v187) dst_sel:DWORD dst_unused:UNUSED_PAD src0_sel:BYTE_0
	v_lshrrev_b32_e32 v191, 16, v184
	v_add_co_ci_u32_e64 v125, null, 0, v125, vcc_lo
	v_add_co_u32 v126, vcc_lo, v126, s26
	v_add_co_ci_u32_e64 v127, null, 0, v127, vcc_lo
	v_add_co_u32 v128, vcc_lo, v128, s26
	s_waitcnt vmcnt(5)
	v_pk_lshrrev_b16 v190, 8, v203 op_sel:[1,0] op_sel_hi:[0,0]
	v_pack_b32_f16 v13, v13, v185
	v_pk_lshrrev_b16 v185, 8, v203 op_sel:[1,1] op_sel_hi:[0,1]
	v_cvt_f16_i16_sdwa v184, sext(v184) dst_sel:DWORD dst_unused:UNUSED_PAD src0_sel:BYTE_0
	v_cvt_f16_i16_sdwa v191, sext(v191) dst_sel:DWORD dst_unused:UNUSED_PAD src0_sel:BYTE_0
	v_add_co_ci_u32_e64 v129, null, 0, v129, vcc_lo
	v_add_co_u32 v130, vcc_lo, v130, s26
	v_add_co_ci_u32_e64 v131, null, 0, v131, vcc_lo
	v_add_co_u32 v132, vcc_lo, v132, s26
	v_add_co_ci_u32_e64 v133, null, 0, v133, vcc_lo
	v_add_co_u32 v134, vcc_lo, v134, s26
	v_mul_u32_u24_e32 v188, 0x10001, v201
	v_lshrrev_b32_e32 v192, 16, v190
	v_lshrrev_b32_e32 v193, 16, v185
	v_pack_b32_f16 v184, v184, v191
	v_add_co_ci_u32_e64 v135, null, 0, v135, vcc_lo
	v_add_co_u32 v136, vcc_lo, v136, s26
	v_add_co_ci_u32_e64 v137, null, 0, v137, vcc_lo
	v_add_co_u32 v138, vcc_lo, v138, s26
	v_mul_u32_u24_sdwa v187, v210, v180 dst_sel:DWORD dst_unused:UNUSED_PAD src0_sel:WORD_0 src1_sel:DWORD
	v_pk_mul_f16 v13, v13, v188
	v_cvt_f16_i16_sdwa v190, sext(v190) dst_sel:DWORD dst_unused:UNUSED_PAD src0_sel:BYTE_0
	v_cvt_f16_i16_sdwa v192, sext(v192) dst_sel:DWORD dst_unused:UNUSED_PAD src0_sel:BYTE_0
	;; [unrolled: 1-line block ×4, first 2 shown]
	v_pk_mul_f16 v184, v184, v188
	v_add_co_ci_u32_e64 v139, null, 0, v139, vcc_lo
	v_add_co_u32 v140, vcc_lo, v140, s26
	v_add_co_ci_u32_e64 v141, null, 0, v141, vcc_lo
	v_add_co_u32 v142, vcc_lo, v142, s26
	;; [unrolled: 2-line block ×3, first 2 shown]
	s_waitcnt vmcnt(4)
	v_mul_u32_u24_e32 v186, 0x10001, v186
	v_pack_b32_f16 v190, v190, v192
	v_pk_fma_f16 v12, v13, v187, v12
	v_pack_b32_f16 v13, v185, v191
	v_pk_fma_f16 v11, v184, v187, v11
	s_waitcnt vmcnt(3)
	v_pk_lshrrev_b16 v184, 8, v207 op_sel:[1,0] op_sel_hi:[0,0]
	v_add_co_ci_u32_e64 v145, null, 0, v145, vcc_lo
	v_add_co_u32 v146, vcc_lo, v146, s26
	v_add_co_ci_u32_e64 v147, null, 0, v147, vcc_lo
	v_add_co_u32 v148, vcc_lo, v148, s26
	v_mul_u32_u24_sdwa v185, v210, v180 dst_sel:DWORD dst_unused:UNUSED_PAD src0_sel:WORD_1 src1_sel:DWORD
	v_pk_mul_f16 v188, v190, v186
	v_pk_mul_f16 v13, v13, v186
	v_pk_lshrrev_b16 v186, 8, v207 op_sel:[1,1] op_sel_hi:[0,1]
	v_lshrrev_b32_e32 v187, 16, v184
	v_add_co_ci_u32_e64 v149, null, 0, v149, vcc_lo
	v_add_co_u32 v150, vcc_lo, v150, s26
	v_add_co_ci_u32_e64 v151, null, 0, v151, vcc_lo
	v_add_co_u32 v152, vcc_lo, v152, s26
	;; [unrolled: 2-line block ×3, first 2 shown]
	v_pk_fma_f16 v12, v188, v185, v12
	v_pk_fma_f16 v11, v13, v185, v11
	v_cvt_f16_i16_sdwa v184, sext(v184) dst_sel:DWORD dst_unused:UNUSED_PAD src0_sel:BYTE_0
	v_lshrrev_b32_e32 v185, 16, v186
	v_cvt_f16_i16_sdwa v187, sext(v187) dst_sel:DWORD dst_unused:UNUSED_PAD src0_sel:BYTE_0
	s_waitcnt vmcnt(2)
	v_pk_lshrrev_b16 v188, 8, v10 op_sel:[1,0] op_sel_hi:[0,0]
	v_pk_lshrrev_b16 v10, 8, v10 op_sel:[1,1] op_sel_hi:[0,1]
	v_add_co_ci_u32_e64 v155, null, 0, v155, vcc_lo
	v_add_co_u32 v156, vcc_lo, v156, s26
	v_add_co_ci_u32_e64 v157, null, 0, v157, vcc_lo
	v_add_co_u32 v158, vcc_lo, v158, s26
	v_cvt_f16_i16_sdwa v186, sext(v186) dst_sel:DWORD dst_unused:UNUSED_PAD src0_sel:BYTE_0
	v_cvt_f16_i16_sdwa v185, sext(v185) dst_sel:DWORD dst_unused:UNUSED_PAD src0_sel:BYTE_0
	v_lshrrev_b32_e32 v190, 16, v188
	v_pack_b32_f16 v184, v184, v187
	v_lshrrev_b32_e32 v187, 16, v10
	v_add_co_ci_u32_e64 v159, null, 0, v159, vcc_lo
	v_add_co_u32 v160, vcc_lo, v160, s26
	v_add_co_ci_u32_e64 v161, null, 0, v161, vcc_lo
	v_add_co_u32 v162, vcc_lo, v162, s26
	;; [unrolled: 2-line block ×3, first 2 shown]
	s_waitcnt vmcnt(1)
	v_mul_u32_u24_e32 v189, 0x10001, v189
	v_pack_b32_f16 v185, v186, v185
	v_cvt_f16_i16_sdwa v186, sext(v188) dst_sel:DWORD dst_unused:UNUSED_PAD src0_sel:BYTE_0
	v_cvt_f16_i16_sdwa v188, sext(v190) dst_sel:DWORD dst_unused:UNUSED_PAD src0_sel:BYTE_0
	;; [unrolled: 1-line block ×4, first 2 shown]
	v_add_co_ci_u32_e64 v165, null, 0, v165, vcc_lo
	v_add_co_u32 v166, vcc_lo, v166, s26
	v_add_co_ci_u32_e64 v167, null, 0, v167, vcc_lo
	v_add_co_u32 v168, vcc_lo, v168, s26
	v_mul_u32_u24_sdwa v13, v211, v180 dst_sel:DWORD dst_unused:UNUSED_PAD src0_sel:WORD_0 src1_sel:DWORD
	v_pk_mul_f16 v184, v184, v189
	v_pk_mul_f16 v185, v185, v189
	s_waitcnt vmcnt(0)
	v_mul_u32_u24_e32 v189, 0x10001, v212
	v_pack_b32_f16 v186, v186, v188
	v_pack_b32_f16 v10, v10, v187
	v_add_co_ci_u32_e64 v169, null, 0, v169, vcc_lo
	v_add_co_u32 v170, vcc_lo, v170, s26
	v_add_co_ci_u32_e64 v171, null, 0, v171, vcc_lo
	v_add_co_u32 v172, vcc_lo, v172, s26
	;; [unrolled: 2-line block ×3, first 2 shown]
	v_pk_fma_f16 v12, v184, v13, v12
	v_pk_fma_f16 v13, v185, v13, v11
	v_mul_u32_u24_sdwa v184, v211, v180 dst_sel:DWORD dst_unused:UNUSED_PAD src0_sel:WORD_1 src1_sel:DWORD
	v_pk_mul_f16 v11, v186, v189
	v_pk_mul_f16 v10, v10, v189
	v_add_co_ci_u32_e64 v175, null, 0, v175, vcc_lo
	v_add_co_u32 v176, vcc_lo, v176, s26
	v_add_co_ci_u32_e64 v177, null, 0, v177, vcc_lo
	v_add_co_u32 v178, vcc_lo, v178, s26
	v_pk_fma_f16 v11, v11, v184, v12
	v_pk_fma_f16 v10, v10, v184, v13
	v_add_co_ci_u32_e64 v179, null, 0, v179, vcc_lo
	s_cbranch_scc1 .LBB14_18
; %bb.16:                               ;   in Loop: Header=BB14_11 Depth=1
	v_mov_b32_e32 v12, v181
	s_branch .LBB14_11
.LBB14_17:
	v_mov_b32_e32 v11, 0
	v_mov_b32_e32 v181, 0xfeffffff
	;; [unrolled: 1-line block ×3, first 2 shown]
.LBB14_18:
	v_or_b32_e32 v2, s7, v1
	s_cmp_lg_u64 s[16:17], 0
	s_cselect_b32 s1, -1, 0
	v_cmp_eq_u32_e32 vcc_lo, 0, v2
	s_and_b32 s2, vcc_lo, s1
	s_and_saveexec_b32 s1, s2
	s_cbranch_execz .LBB14_20
; %bb.19:
	s_lshl_b64 s[2:3], s[30:31], 2
	v_max_f32_e32 v2, v181, v181
	s_add_u32 s2, s16, s2
	s_addc_u32 s3, s17, s3
	s_load_dword s2, s[2:3], 0x0
	s_waitcnt lgkmcnt(0)
	v_max_f32_e64 v3, s2, s2
	v_max_f32_e32 v2, v2, v3
	v_sub_f32_e32 v3, v181, v2
	v_sub_f32_e32 v4, s2, v2
	v_mov_b32_e32 v181, v2
	v_mul_f32_e32 v5, 0x3fb8aa3b, v3
	v_mul_f32_e32 v6, 0x3fb8aa3b, v4
	v_cmp_ngt_f32_e32 vcc_lo, 0xc2ce8ed0, v3
	v_fma_f32 v7, 0x3fb8aa3b, v3, -v5
	v_rndne_f32_e32 v8, v5
	v_fma_f32 v9, 0x3fb8aa3b, v4, -v6
	v_rndne_f32_e32 v12, v6
	v_fmac_f32_e32 v7, 0x32a5705f, v3
	v_sub_f32_e32 v5, v5, v8
	v_fmac_f32_e32 v9, 0x32a5705f, v4
	v_sub_f32_e32 v6, v6, v12
	v_add_f32_e32 v5, v5, v7
	v_cvt_i32_f32_e32 v7, v8
	v_add_f32_e32 v6, v6, v9
	v_cvt_i32_f32_e32 v8, v12
	v_exp_f32_e32 v5, v5
	v_exp_f32_e32 v6, v6
	v_ldexp_f32 v5, v5, v7
	v_ldexp_f32 v6, v6, v8
	v_cndmask_b32_e32 v5, 0, v5, vcc_lo
	v_cmp_ngt_f32_e32 vcc_lo, 0xc2ce8ed0, v4
	v_cndmask_b32_e32 v6, 0, v6, vcc_lo
	v_cmp_nlt_f32_e32 vcc_lo, 0x42b17218, v3
	v_cndmask_b32_e32 v3, 0x7f800000, v5, vcc_lo
	v_cmp_nlt_f32_e32 vcc_lo, 0x42b17218, v4
	v_mov_b32_e32 v5, 0x10001
	v_cndmask_b32_e32 v4, 0x7f800000, v6, vcc_lo
	v_cmp_eq_u32_e32 vcc_lo, 0, v0
	v_cvt_f16_f32_e32 v6, v3
	v_cndmask_b32_e32 v4, 0, v4, vcc_lo
	v_mul_u32_u24_sdwa v5, v6, v5 dst_sel:DWORD dst_unused:UNUSED_PAD src0_sel:WORD_0 src1_sel:DWORD
	v_fmac_f32_e32 v4, v37, v3
	v_pk_mul_f16 v11, v11, v5
	v_pk_mul_f16 v10, v10, v5
	v_mov_b32_e32 v37, v4
.LBB14_20:
	s_or_b32 exec_lo, exec_lo, s1
	s_and_saveexec_b32 s1, s0
	s_cbranch_execz .LBB14_22
; %bb.21:
	v_mov_b32_e32 v2, 0xfeffffff
	v_mov_b32_e32 v3, 0
	v_add_nc_u32_e32 v4, 0x400, v36
	ds_write2_b32 v4, v2, v3 offset1:32
.LBB14_22:
	s_or_b32 exec_lo, exec_lo, s1
	v_cmp_eq_u32_e32 vcc_lo, 0, v0
	v_lshlrev_b32_e32 v4, 2, v1
	s_waitcnt lgkmcnt(0)
	s_barrier
	buffer_gl0_inv
	s_and_saveexec_b32 s0, vcc_lo
; %bb.23:
	ds_write_b32 v4, v181 offset:1024
; %bb.24:
	s_or_b32 exec_lo, exec_lo, s0
	s_waitcnt lgkmcnt(0)
	s_barrier
	buffer_gl0_inv
	ds_read_b32 v2, v36 offset:1024
	v_xor_b32_e32 v3, 16, v32
	v_xor_b32_e32 v6, 8, v32
	s_load_dword s1, s[4:5], 0xd4
	v_lshlrev_b32_e32 v0, 3, v0
	v_cmp_gt_i32_e64 s0, 32, v3
	v_lshl_add_u32 v0, v1, 8, v0
	v_cndmask_b32_e64 v3, v32, v3, s0
	v_cmp_gt_i32_e64 s0, 32, v6
	v_lshlrev_b32_e32 v3, 2, v3
	v_cndmask_b32_e64 v6, v32, v6, s0
	s_waitcnt lgkmcnt(0)
	ds_bpermute_b32 v5, v3, v2
	v_max_f32_e32 v2, v2, v2
	s_waitcnt lgkmcnt(0)
	v_max_f32_e32 v7, v5, v5
	v_lshlrev_b32_e32 v5, 2, v6
	v_max_f32_e32 v2, v2, v7
	v_xor_b32_e32 v7, 4, v32
	ds_bpermute_b32 v6, v5, v2
	v_cmp_gt_i32_e64 s0, 32, v7
	v_cndmask_b32_e64 v7, v32, v7, s0
	s_waitcnt lgkmcnt(0)
	v_max_f32_e32 v8, v6, v6
	v_lshlrev_b32_e32 v6, 2, v7
	v_max_f32_e32 v2, v2, v8
	v_xor_b32_e32 v8, 2, v32
	ds_bpermute_b32 v7, v6, v2
	v_cmp_gt_i32_e64 s0, 32, v8
	v_cndmask_b32_e64 v8, v32, v8, s0
	;; [unrolled: 8-line block ×3, first 2 shown]
	s_waitcnt lgkmcnt(0)
	v_max_f32_e32 v12, v8, v8
	v_lshlrev_b32_e32 v8, 2, v9
	v_max_f32_e32 v2, v2, v12
	ds_bpermute_b32 v9, v8, v2
	s_waitcnt lgkmcnt(0)
	v_max_f32_e32 v9, v9, v9
	v_max_f32_e32 v2, v2, v9
	v_sub_f32_e32 v9, v181, v2
	v_mul_f32_e32 v12, 0x3fb8aa3b, v9
	v_cmp_ngt_f32_e64 s0, 0xc2ce8ed0, v9
	v_fma_f32 v13, 0x3fb8aa3b, v9, -v12
	v_rndne_f32_e32 v14, v12
	v_fmamk_f32 v13, v9, 0x32a5705f, v13
	v_sub_f32_e32 v12, v12, v14
	v_add_f32_e32 v12, v12, v13
	v_cvt_i32_f32_e32 v13, v14
	v_mov_b32_e32 v14, 0x10001
	v_exp_f32_e32 v12, v12
	v_ldexp_f32 v12, v12, v13
	v_cndmask_b32_e64 v12, 0, v12, s0
	v_cmp_nlt_f32_e64 s0, 0x42b17218, v9
	v_cndmask_b32_e64 v13, 0x7f800000, v12, s0
	v_mul_f32_e32 v9, v37, v13
	ds_bpermute_b32 v9, v3, v9
	s_waitcnt lgkmcnt(0)
	v_fmac_f32_e32 v9, v37, v13
	v_cvt_f16_f32_e32 v13, v13
	ds_bpermute_b32 v12, v5, v9
	v_mul_u32_u24_sdwa v14, v13, v14 dst_sel:DWORD dst_unused:UNUSED_PAD src0_sel:WORD_0 src1_sel:DWORD
	v_pk_mul_f16 v13, v11, v14
	v_pk_mul_f16 v14, v10, v14
	ds_write_b64 v0, v[13:14]
	s_waitcnt lgkmcnt(1)
	v_add_f32_e32 v9, v9, v12
	ds_bpermute_b32 v12, v6, v9
	s_waitcnt lgkmcnt(0)
	v_add_f32_e32 v9, v9, v12
	ds_bpermute_b32 v12, v7, v9
	;; [unrolled: 3-line block ×3, first 2 shown]
	s_and_saveexec_b32 s0, vcc_lo
	s_cbranch_execz .LBB14_26
; %bb.25:
	s_waitcnt lgkmcnt(0)
	v_add_f32_e32 v0, v9, v12
	ds_write_b32 v4, v0 offset:1152
.LBB14_26:
	s_or_b32 exec_lo, exec_lo, s0
	s_waitcnt lgkmcnt(0)
	s_barrier
	buffer_gl0_inv
	ds_read_b32 v0, v36 offset:1152
	ds_read_u16 v1, v35 offset:768
	s_mul_i32 s0, s33, s28
	s_mov_b32 s3, 0
	s_add_i32 s0, s0, s6
	s_mul_i32 s0, s0, s29
	s_add_i32 s0, s0, s30
	s_mul_i32 s0, s1, s0
	s_add_i32 s2, s0, s7
	s_cmp_eq_u32 s1, 1
	s_waitcnt lgkmcnt(1)
	ds_bpermute_b32 v3, v3, v0
	s_waitcnt lgkmcnt(1)
	v_cvt_f32_f16_e32 v1, v1
	s_waitcnt lgkmcnt(0)
	v_add_f32_e32 v0, v0, v3
	ds_bpermute_b32 v3, v5, v0
	s_waitcnt lgkmcnt(0)
	v_add_f32_e32 v0, v0, v3
	ds_bpermute_b32 v3, v6, v0
	ds_read_u16 v4, v35
	ds_read_u16 v5, v35 offset:256
	ds_read_u16 v6, v35 offset:512
	s_waitcnt lgkmcnt(1)
	v_cvt_f32_f16_e32 v5, v5
	v_add_f32_e32 v0, v0, v3
	s_waitcnt lgkmcnt(0)
	v_cvt_f32_f16_e32 v6, v6
	ds_bpermute_b32 v3, v7, v0
	s_waitcnt lgkmcnt(0)
	v_add_f32_e32 v0, v0, v3
	v_cvt_f32_f16_e32 v3, v4
	ds_bpermute_b32 v4, v8, v0
	v_add_f32_e32 v3, 0, v3
	v_add_f32_e32 v3, v3, v5
	v_add_f32_e32 v3, v3, v6
	v_add_f32_e32 v6, v3, v1
	s_waitcnt lgkmcnt(0)
	v_add_f32_e32 v3, v0, v4
	v_div_scale_f32 v0, null, v3, v3, v6
	v_div_scale_f32 v5, vcc_lo, v6, v3, v6
	v_rcp_f32_e32 v4, v0
	v_fma_f32 v1, -v0, v4, 1.0
	v_fmac_f32_e32 v4, v1, v4
	v_mul_f32_e32 v7, v5, v4
	v_fma_f32 v1, -v0, v7, v5
	v_fmac_f32_e32 v7, v1, v4
	v_mov_b32_e32 v1, 0
	v_fma_f32 v5, -v0, v7, v5
	v_lshl_or_b32 v0, s2, 7, v34
	v_div_fmas_f32 v7, v5, v4, v7
	v_lshlrev_b64 v[4:5], 2, v[0:1]
	v_cmp_eq_u32_e32 vcc_lo, 0, v34
	v_div_fixup_f32 v0, v7, v3, v6
	v_add_co_u32 v4, s0, s20, v4
	v_add_co_ci_u32_e64 v5, null, s21, v5, s0
	s_cselect_b32 s0, -1, 0
	s_cmp_lg_u32 s1, 1
	v_cndmask_b32_e64 v0, v6, v0, s0
	s_cselect_b32 s0, -1, 0
	s_and_b32 s0, vcc_lo, s0
	global_store_dword v[4:5], v0, off
	s_and_saveexec_b32 s1, s0
	s_cbranch_execz .LBB14_28
; %bb.27:
	s_lshl_b64 s[0:1], s[2:3], 3
	s_add_u32 s0, s22, s0
	s_addc_u32 s1, s23, s1
	global_store_dwordx2 v1, v[2:3], s[0:1]
.LBB14_28:
	s_endpgm
	.section	.rodata,"a",@progbits
	.p2align	6, 0x0
	.amdhsa_kernel _ZL18flash_attn_ext_vecILi128ELi1EL9ggml_type2ELS0_8ELb0EEvPKcS2_S2_S2_S2_PKiPfP15HIP_vector_typeIfLj2EEffffjfiS6_IjLj3EEiiiiiiiiiiiliiliiiiil
		.amdhsa_group_segment_fixed_size 1280
		.amdhsa_private_segment_fixed_size 0
		.amdhsa_kernarg_size 464
		.amdhsa_user_sgpr_count 6
		.amdhsa_user_sgpr_private_segment_buffer 1
		.amdhsa_user_sgpr_dispatch_ptr 0
		.amdhsa_user_sgpr_queue_ptr 0
		.amdhsa_user_sgpr_kernarg_segment_ptr 1
		.amdhsa_user_sgpr_dispatch_id 0
		.amdhsa_user_sgpr_flat_scratch_init 0
		.amdhsa_user_sgpr_private_segment_size 0
		.amdhsa_wavefront_size32 1
		.amdhsa_uses_dynamic_stack 0
		.amdhsa_system_sgpr_private_segment_wavefront_offset 0
		.amdhsa_system_sgpr_workgroup_id_x 1
		.amdhsa_system_sgpr_workgroup_id_y 1
		.amdhsa_system_sgpr_workgroup_id_z 1
		.amdhsa_system_sgpr_workgroup_info 0
		.amdhsa_system_vgpr_workitem_id 1
		.amdhsa_next_free_vgpr 220
		.amdhsa_next_free_sgpr 50
		.amdhsa_reserve_vcc 1
		.amdhsa_reserve_flat_scratch 0
		.amdhsa_float_round_mode_32 0
		.amdhsa_float_round_mode_16_64 0
		.amdhsa_float_denorm_mode_32 3
		.amdhsa_float_denorm_mode_16_64 3
		.amdhsa_dx10_clamp 1
		.amdhsa_ieee_mode 1
		.amdhsa_fp16_overflow 0
		.amdhsa_workgroup_processor_mode 1
		.amdhsa_memory_ordered 1
		.amdhsa_forward_progress 1
		.amdhsa_shared_vgpr_count 0
		.amdhsa_exception_fp_ieee_invalid_op 0
		.amdhsa_exception_fp_denorm_src 0
		.amdhsa_exception_fp_ieee_div_zero 0
		.amdhsa_exception_fp_ieee_overflow 0
		.amdhsa_exception_fp_ieee_underflow 0
		.amdhsa_exception_fp_ieee_inexact 0
		.amdhsa_exception_int_div_zero 0
	.end_amdhsa_kernel
	.section	.text._ZL18flash_attn_ext_vecILi128ELi1EL9ggml_type2ELS0_8ELb0EEvPKcS2_S2_S2_S2_PKiPfP15HIP_vector_typeIfLj2EEffffjfiS6_IjLj3EEiiiiiiiiiiiliiliiiiil,"axG",@progbits,_ZL18flash_attn_ext_vecILi128ELi1EL9ggml_type2ELS0_8ELb0EEvPKcS2_S2_S2_S2_PKiPfP15HIP_vector_typeIfLj2EEffffjfiS6_IjLj3EEiiiiiiiiiiiliiliiiiil,comdat
.Lfunc_end14:
	.size	_ZL18flash_attn_ext_vecILi128ELi1EL9ggml_type2ELS0_8ELb0EEvPKcS2_S2_S2_S2_PKiPfP15HIP_vector_typeIfLj2EEffffjfiS6_IjLj3EEiiiiiiiiiiiliiliiiiil, .Lfunc_end14-_ZL18flash_attn_ext_vecILi128ELi1EL9ggml_type2ELS0_8ELb0EEvPKcS2_S2_S2_S2_PKiPfP15HIP_vector_typeIfLj2EEffffjfiS6_IjLj3EEiiiiiiiiiiiliiliiiiil
                                        ; -- End function
	.set _ZL18flash_attn_ext_vecILi128ELi1EL9ggml_type2ELS0_8ELb0EEvPKcS2_S2_S2_S2_PKiPfP15HIP_vector_typeIfLj2EEffffjfiS6_IjLj3EEiiiiiiiiiiiliiliiiiil.num_vgpr, 220
	.set _ZL18flash_attn_ext_vecILi128ELi1EL9ggml_type2ELS0_8ELb0EEvPKcS2_S2_S2_S2_PKiPfP15HIP_vector_typeIfLj2EEffffjfiS6_IjLj3EEiiiiiiiiiiiliiliiiiil.num_agpr, 0
	.set _ZL18flash_attn_ext_vecILi128ELi1EL9ggml_type2ELS0_8ELb0EEvPKcS2_S2_S2_S2_PKiPfP15HIP_vector_typeIfLj2EEffffjfiS6_IjLj3EEiiiiiiiiiiiliiliiiiil.numbered_sgpr, 50
	.set _ZL18flash_attn_ext_vecILi128ELi1EL9ggml_type2ELS0_8ELb0EEvPKcS2_S2_S2_S2_PKiPfP15HIP_vector_typeIfLj2EEffffjfiS6_IjLj3EEiiiiiiiiiiiliiliiiiil.num_named_barrier, 0
	.set _ZL18flash_attn_ext_vecILi128ELi1EL9ggml_type2ELS0_8ELb0EEvPKcS2_S2_S2_S2_PKiPfP15HIP_vector_typeIfLj2EEffffjfiS6_IjLj3EEiiiiiiiiiiiliiliiiiil.private_seg_size, 0
	.set _ZL18flash_attn_ext_vecILi128ELi1EL9ggml_type2ELS0_8ELb0EEvPKcS2_S2_S2_S2_PKiPfP15HIP_vector_typeIfLj2EEffffjfiS6_IjLj3EEiiiiiiiiiiiliiliiiiil.uses_vcc, 1
	.set _ZL18flash_attn_ext_vecILi128ELi1EL9ggml_type2ELS0_8ELb0EEvPKcS2_S2_S2_S2_PKiPfP15HIP_vector_typeIfLj2EEffffjfiS6_IjLj3EEiiiiiiiiiiiliiliiiiil.uses_flat_scratch, 0
	.set _ZL18flash_attn_ext_vecILi128ELi1EL9ggml_type2ELS0_8ELb0EEvPKcS2_S2_S2_S2_PKiPfP15HIP_vector_typeIfLj2EEffffjfiS6_IjLj3EEiiiiiiiiiiiliiliiiiil.has_dyn_sized_stack, 0
	.set _ZL18flash_attn_ext_vecILi128ELi1EL9ggml_type2ELS0_8ELb0EEvPKcS2_S2_S2_S2_PKiPfP15HIP_vector_typeIfLj2EEffffjfiS6_IjLj3EEiiiiiiiiiiiliiliiiiil.has_recursion, 0
	.set _ZL18flash_attn_ext_vecILi128ELi1EL9ggml_type2ELS0_8ELb0EEvPKcS2_S2_S2_S2_PKiPfP15HIP_vector_typeIfLj2EEffffjfiS6_IjLj3EEiiiiiiiiiiiliiliiiiil.has_indirect_call, 0
	.section	.AMDGPU.csdata,"",@progbits
; Kernel info:
; codeLenInByte = 15680
; TotalNumSgprs: 52
; NumVgprs: 220
; ScratchSize: 0
; MemoryBound: 0
; FloatMode: 240
; IeeeMode: 1
; LDSByteSize: 1280 bytes/workgroup (compile time only)
; SGPRBlocks: 0
; VGPRBlocks: 27
; NumSGPRsForWavesPerEU: 52
; NumVGPRsForWavesPerEU: 220
; Occupancy: 4
; WaveLimiterHint : 0
; COMPUTE_PGM_RSRC2:SCRATCH_EN: 0
; COMPUTE_PGM_RSRC2:USER_SGPR: 6
; COMPUTE_PGM_RSRC2:TRAP_HANDLER: 0
; COMPUTE_PGM_RSRC2:TGID_X_EN: 1
; COMPUTE_PGM_RSRC2:TGID_Y_EN: 1
; COMPUTE_PGM_RSRC2:TGID_Z_EN: 1
; COMPUTE_PGM_RSRC2:TIDIG_COMP_CNT: 1
	.section	.text._ZL33flash_attn_stream_k_fixup_uniformILi128ELi1ELi1EEvPfPK15HIP_vector_typeIfLj2EEiiiiiiS1_IjLj3EES5_S5_,"axG",@progbits,_ZL33flash_attn_stream_k_fixup_uniformILi128ELi1ELi1EEvPfPK15HIP_vector_typeIfLj2EEiiiiiiS1_IjLj3EES5_S5_,comdat
	.globl	_ZL33flash_attn_stream_k_fixup_uniformILi128ELi1ELi1EEvPfPK15HIP_vector_typeIfLj2EEiiiiiiS1_IjLj3EES5_S5_ ; -- Begin function _ZL33flash_attn_stream_k_fixup_uniformILi128ELi1ELi1EEvPfPK15HIP_vector_typeIfLj2EEiiiiiiS1_IjLj3EES5_S5_
	.p2align	8
	.type	_ZL33flash_attn_stream_k_fixup_uniformILi128ELi1ELi1EEvPfPK15HIP_vector_typeIfLj2EEiiiiiiS1_IjLj3EES5_S5_,@function
_ZL33flash_attn_stream_k_fixup_uniformILi128ELi1ELi1EEvPfPK15HIP_vector_typeIfLj2EEiiiiiiS1_IjLj3EES5_S5_: ; @_ZL33flash_attn_stream_k_fixup_uniformILi128ELi1ELi1EEvPfPK15HIP_vector_typeIfLj2EEiiiiiiS1_IjLj3EES5_S5_
; %bb.0:
	s_clause 0x1
	s_load_dwordx8 s[12:19], s[4:5], 0x1c
	s_load_dwordx4 s[0:3], s[4:5], 0x3c
	s_waitcnt lgkmcnt(0)
	s_mul_hi_u32 s9, s15, s6
	s_add_i32 s9, s6, s9
	s_lshr_b32 s9, s9, s16
	s_mul_i32 s10, s9, s17
	s_sub_i32 s16, s6, s10
	s_load_dwordx2 s[10:11], s[4:5], 0x10
	s_mul_hi_u32 s15, s16, s18
	s_add_i32 s15, s16, s15
	s_lshr_b32 s15, s15, s19
	s_mul_i32 s0, s15, s0
	s_sub_i32 s0, s16, s0
	s_mul_hi_u32 s1, s0, s1
	s_add_i32 s1, s0, s1
	s_lshr_b32 s17, s1, s2
	s_mul_i32 s1, s17, s3
	s_sub_i32 s16, s0, s1
	s_add_i32 s16, s16, s7
	s_waitcnt lgkmcnt(0)
	s_cmp_lt_i32 s16, s10
	s_cselect_b32 s0, -1, 0
	s_add_i32 s17, s17, s8
	s_cmp_lt_i32 s17, s13
	s_cselect_b32 s1, -1, 0
	s_and_b32 s0, s0, s1
	s_andn2_b32 vcc_lo, exec_lo, s0
	s_cbranch_vccnz .LBB15_6
; %bb.1:
	s_mul_i32 s9, s9, s10
	s_load_dwordx4 s[0:3], s[4:5], 0x0
	s_mul_i32 s15, s15, s13
	s_add_i32 s4, s16, s9
	s_add_i32 s5, s17, s15
	s_mul_i32 s4, s4, s11
	s_add_i32 s5, s5, s4
	s_mul_i32 s4, s14, s6
	v_lshl_or_b32 v1, s5, 7, v0
	s_add_i32 s6, s7, s8
	s_add_i32 s5, s4, s14
	;; [unrolled: 1-line block ×3, first 2 shown]
	v_ashrrev_i32_e32 v2, 31, v1
	v_lshlrev_b64 v[1:2], 2, v[1:2]
	s_waitcnt lgkmcnt(0)
	v_add_co_u32 v1, vcc_lo, s0, v1
	v_add_co_ci_u32_e64 v2, null, s1, v2, vcc_lo
	s_add_i32 s0, s7, -1
	s_ashr_i32 s1, s0, 31
	global_load_dword v5, v[1:2], off
	s_lshl_b64 s[0:1], s[0:1], 3
	s_add_u32 s0, s2, s0
	s_addc_u32 s1, s3, s1
	s_add_i32 s9, s5, -2
	s_load_dword s8, s[0:1], 0x4
	s_cmp_lt_i32 s9, s4
	s_cbranch_scc1 .LBB15_4
; %bb.2:
	s_load_dword s9, s[0:1], 0x0
	v_lshl_or_b32 v0, s7, 7, v0
	s_lshl_b32 s0, s12, 2
	s_waitcnt lgkmcnt(0)
	v_mov_b32_e32 v6, s8
	s_ashr_i32 s1, s0, 31
	s_lshl_b64 s[0:1], s[0:1], 2
	v_add_nc_u32_e32 v3, 0xffffff00, v0
	s_add_u32 s0, s2, s0
	s_addc_u32 s1, s3, s1
	s_add_i32 s5, s5, -1
	s_add_i32 s6, s6, s12
	v_mov_b32_e32 v0, s9
.LBB15_3:                               ; =>This Inner Loop Header: Depth=1
	v_ashrrev_i32_e32 v4, 31, v3
	s_add_i32 s5, s5, -1
	s_add_i32 s8, s5, s6
	s_ashr_i32 s9, s8, 31
	v_lshlrev_b64 v[7:8], 2, v[3:4]
	s_lshl_b64 s[8:9], s[8:9], 3
	v_add_nc_u32_e32 v3, 0xffffff80, v3
	s_add_u32 s8, s2, s8
	s_addc_u32 s9, s3, s9
	s_cmp_le_i32 s5, s4
	v_add_co_u32 v7, vcc_lo, s0, v7
	v_add_co_ci_u32_e64 v8, null, s1, v8, vcc_lo
	s_load_dwordx2 s[8:9], s[8:9], 0x0
	global_load_dword v4, v[7:8], off
	v_max_f32_e32 v7, v0, v0
	s_waitcnt lgkmcnt(0)
	v_max_f32_e64 v8, s8, s8
	v_max_f32_e32 v7, v7, v8
	v_sub_f32_e32 v8, s8, v7
	v_sub_f32_e32 v0, v0, v7
	v_mul_f32_e32 v9, 0x3fb8aa3b, v8
	v_mul_f32_e32 v12, 0x3fb8aa3b, v0
	v_cmp_ngt_f32_e32 vcc_lo, 0xc2ce8ed0, v8
	v_fma_f32 v10, 0x3fb8aa3b, v8, -v9
	v_rndne_f32_e32 v11, v9
	v_fma_f32 v13, 0x3fb8aa3b, v0, -v12
	v_rndne_f32_e32 v14, v12
	v_fmac_f32_e32 v10, 0x32a5705f, v8
	v_sub_f32_e32 v9, v9, v11
	v_fmac_f32_e32 v13, 0x32a5705f, v0
	v_cvt_i32_f32_e32 v11, v11
	v_add_f32_e32 v9, v9, v10
	v_sub_f32_e32 v10, v12, v14
	v_exp_f32_e32 v9, v9
	v_add_f32_e32 v10, v10, v13
	v_exp_f32_e32 v10, v10
	v_ldexp_f32 v9, v9, v11
	v_cvt_i32_f32_e32 v11, v14
	v_cndmask_b32_e32 v9, 0, v9, vcc_lo
	v_cmp_nlt_f32_e32 vcc_lo, 0x42b17218, v8
	v_ldexp_f32 v10, v10, v11
	v_mov_b32_e32 v11, v6
	v_cndmask_b32_e32 v9, 0x7f800000, v9, vcc_lo
	v_cmp_ngt_f32_e32 vcc_lo, 0xc2ce8ed0, v0
	v_cndmask_b32_e32 v10, 0, v10, vcc_lo
	v_cmp_le_f32_e32 vcc_lo, 0xc1a00000, v8
	v_cndmask_b32_e32 v8, 0, v9, vcc_lo
	v_cmp_nlt_f32_e32 vcc_lo, 0x42b17218, v0
	s_waitcnt vmcnt(1)
	v_mov_b32_e32 v9, v5
	v_cndmask_b32_e32 v5, 0x7f800000, v10, vcc_lo
	v_mul_f32_e32 v10, s9, v8
	v_cmp_le_f32_e32 vcc_lo, 0xc1a00000, v0
	v_mov_b32_e32 v0, v7
	v_mov_b32_e32 v6, v10
	v_cndmask_b32_e32 v12, 0, v5, vcc_lo
	v_fmac_f32_e32 v6, v11, v12
	s_waitcnt vmcnt(0)
	v_mul_f32_e32 v5, v4, v8
	v_fmac_f32_e32 v5, v9, v12
	s_cbranch_scc0 .LBB15_3
	s_branch .LBB15_5
.LBB15_4:
	s_waitcnt lgkmcnt(0)
	v_mov_b32_e32 v6, s8
.LBB15_5:
	s_waitcnt vmcnt(0)
	v_div_scale_f32 v0, null, v6, v6, v5
	v_rcp_f32_e32 v3, v0
	v_fma_f32 v4, -v0, v3, 1.0
	v_fmac_f32_e32 v3, v4, v3
	v_div_scale_f32 v4, vcc_lo, v5, v6, v5
	v_mul_f32_e32 v7, v4, v3
	v_fma_f32 v8, -v0, v7, v4
	v_fmac_f32_e32 v7, v8, v3
	v_fma_f32 v0, -v0, v7, v4
	v_div_fmas_f32 v0, v0, v3, v7
	v_div_fixup_f32 v0, v0, v6, v5
	global_store_dword v[1:2], v0, off
.LBB15_6:
	s_endpgm
	.section	.rodata,"a",@progbits
	.p2align	6, 0x0
	.amdhsa_kernel _ZL33flash_attn_stream_k_fixup_uniformILi128ELi1ELi1EEvPfPK15HIP_vector_typeIfLj2EEiiiiiiS1_IjLj3EES5_S5_
		.amdhsa_group_segment_fixed_size 0
		.amdhsa_private_segment_fixed_size 0
		.amdhsa_kernarg_size 76
		.amdhsa_user_sgpr_count 6
		.amdhsa_user_sgpr_private_segment_buffer 1
		.amdhsa_user_sgpr_dispatch_ptr 0
		.amdhsa_user_sgpr_queue_ptr 0
		.amdhsa_user_sgpr_kernarg_segment_ptr 1
		.amdhsa_user_sgpr_dispatch_id 0
		.amdhsa_user_sgpr_flat_scratch_init 0
		.amdhsa_user_sgpr_private_segment_size 0
		.amdhsa_wavefront_size32 1
		.amdhsa_uses_dynamic_stack 0
		.amdhsa_system_sgpr_private_segment_wavefront_offset 0
		.amdhsa_system_sgpr_workgroup_id_x 1
		.amdhsa_system_sgpr_workgroup_id_y 1
		.amdhsa_system_sgpr_workgroup_id_z 1
		.amdhsa_system_sgpr_workgroup_info 0
		.amdhsa_system_vgpr_workitem_id 0
		.amdhsa_next_free_vgpr 15
		.amdhsa_next_free_sgpr 20
		.amdhsa_reserve_vcc 1
		.amdhsa_reserve_flat_scratch 0
		.amdhsa_float_round_mode_32 0
		.amdhsa_float_round_mode_16_64 0
		.amdhsa_float_denorm_mode_32 3
		.amdhsa_float_denorm_mode_16_64 3
		.amdhsa_dx10_clamp 1
		.amdhsa_ieee_mode 1
		.amdhsa_fp16_overflow 0
		.amdhsa_workgroup_processor_mode 1
		.amdhsa_memory_ordered 1
		.amdhsa_forward_progress 1
		.amdhsa_shared_vgpr_count 0
		.amdhsa_exception_fp_ieee_invalid_op 0
		.amdhsa_exception_fp_denorm_src 0
		.amdhsa_exception_fp_ieee_div_zero 0
		.amdhsa_exception_fp_ieee_overflow 0
		.amdhsa_exception_fp_ieee_underflow 0
		.amdhsa_exception_fp_ieee_inexact 0
		.amdhsa_exception_int_div_zero 0
	.end_amdhsa_kernel
	.section	.text._ZL33flash_attn_stream_k_fixup_uniformILi128ELi1ELi1EEvPfPK15HIP_vector_typeIfLj2EEiiiiiiS1_IjLj3EES5_S5_,"axG",@progbits,_ZL33flash_attn_stream_k_fixup_uniformILi128ELi1ELi1EEvPfPK15HIP_vector_typeIfLj2EEiiiiiiS1_IjLj3EES5_S5_,comdat
.Lfunc_end15:
	.size	_ZL33flash_attn_stream_k_fixup_uniformILi128ELi1ELi1EEvPfPK15HIP_vector_typeIfLj2EEiiiiiiS1_IjLj3EES5_S5_, .Lfunc_end15-_ZL33flash_attn_stream_k_fixup_uniformILi128ELi1ELi1EEvPfPK15HIP_vector_typeIfLj2EEiiiiiiS1_IjLj3EES5_S5_
                                        ; -- End function
	.set _ZL33flash_attn_stream_k_fixup_uniformILi128ELi1ELi1EEvPfPK15HIP_vector_typeIfLj2EEiiiiiiS1_IjLj3EES5_S5_.num_vgpr, 15
	.set _ZL33flash_attn_stream_k_fixup_uniformILi128ELi1ELi1EEvPfPK15HIP_vector_typeIfLj2EEiiiiiiS1_IjLj3EES5_S5_.num_agpr, 0
	.set _ZL33flash_attn_stream_k_fixup_uniformILi128ELi1ELi1EEvPfPK15HIP_vector_typeIfLj2EEiiiiiiS1_IjLj3EES5_S5_.numbered_sgpr, 20
	.set _ZL33flash_attn_stream_k_fixup_uniformILi128ELi1ELi1EEvPfPK15HIP_vector_typeIfLj2EEiiiiiiS1_IjLj3EES5_S5_.num_named_barrier, 0
	.set _ZL33flash_attn_stream_k_fixup_uniformILi128ELi1ELi1EEvPfPK15HIP_vector_typeIfLj2EEiiiiiiS1_IjLj3EES5_S5_.private_seg_size, 0
	.set _ZL33flash_attn_stream_k_fixup_uniformILi128ELi1ELi1EEvPfPK15HIP_vector_typeIfLj2EEiiiiiiS1_IjLj3EES5_S5_.uses_vcc, 1
	.set _ZL33flash_attn_stream_k_fixup_uniformILi128ELi1ELi1EEvPfPK15HIP_vector_typeIfLj2EEiiiiiiS1_IjLj3EES5_S5_.uses_flat_scratch, 0
	.set _ZL33flash_attn_stream_k_fixup_uniformILi128ELi1ELi1EEvPfPK15HIP_vector_typeIfLj2EEiiiiiiS1_IjLj3EES5_S5_.has_dyn_sized_stack, 0
	.set _ZL33flash_attn_stream_k_fixup_uniformILi128ELi1ELi1EEvPfPK15HIP_vector_typeIfLj2EEiiiiiiS1_IjLj3EES5_S5_.has_recursion, 0
	.set _ZL33flash_attn_stream_k_fixup_uniformILi128ELi1ELi1EEvPfPK15HIP_vector_typeIfLj2EEiiiiiiS1_IjLj3EES5_S5_.has_indirect_call, 0
	.section	.AMDGPU.csdata,"",@progbits
; Kernel info:
; codeLenInByte = 776
; TotalNumSgprs: 22
; NumVgprs: 15
; ScratchSize: 0
; MemoryBound: 0
; FloatMode: 240
; IeeeMode: 1
; LDSByteSize: 0 bytes/workgroup (compile time only)
; SGPRBlocks: 0
; VGPRBlocks: 1
; NumSGPRsForWavesPerEU: 22
; NumVGPRsForWavesPerEU: 15
; Occupancy: 16
; WaveLimiterHint : 0
; COMPUTE_PGM_RSRC2:SCRATCH_EN: 0
; COMPUTE_PGM_RSRC2:USER_SGPR: 6
; COMPUTE_PGM_RSRC2:TRAP_HANDLER: 0
; COMPUTE_PGM_RSRC2:TGID_X_EN: 1
; COMPUTE_PGM_RSRC2:TGID_Y_EN: 1
; COMPUTE_PGM_RSRC2:TGID_Z_EN: 1
; COMPUTE_PGM_RSRC2:TIDIG_COMP_CNT: 0
	.section	.text._ZL33flash_attn_stream_k_fixup_generalILi128ELi1ELi1EEvPfPK15HIP_vector_typeIfLj2EEiiiiS1_IjLj3EES5_S5_S5_,"axG",@progbits,_ZL33flash_attn_stream_k_fixup_generalILi128ELi1ELi1EEvPfPK15HIP_vector_typeIfLj2EEiiiiS1_IjLj3EES5_S5_S5_,comdat
	.globl	_ZL33flash_attn_stream_k_fixup_generalILi128ELi1ELi1EEvPfPK15HIP_vector_typeIfLj2EEiiiiS1_IjLj3EES5_S5_S5_ ; -- Begin function _ZL33flash_attn_stream_k_fixup_generalILi128ELi1ELi1EEvPfPK15HIP_vector_typeIfLj2EEiiiiS1_IjLj3EES5_S5_S5_
	.p2align	8
	.type	_ZL33flash_attn_stream_k_fixup_generalILi128ELi1ELi1EEvPfPK15HIP_vector_typeIfLj2EEiiiiS1_IjLj3EES5_S5_S5_,@function
_ZL33flash_attn_stream_k_fixup_generalILi128ELi1ELi1EEvPfPK15HIP_vector_typeIfLj2EEiiiiS1_IjLj3EES5_S5_S5_: ; @_ZL33flash_attn_stream_k_fixup_generalILi128ELi1ELi1EEvPfPK15HIP_vector_typeIfLj2EEiiiiS1_IjLj3EES5_S5_S5_
; %bb.0:
	s_clause 0x1
	s_load_dwordx4 s[0:3], s[4:5], 0x10
	s_load_dword s9, s[4:5], 0x50
	s_mov_b32 s16, 0
	s_waitcnt lgkmcnt(0)
	s_mul_hi_i32 s17, s3, s6
	s_mul_i32 s18, s3, s6
	s_cmp_lg_u64 s[16:17], 0
	s_cbranch_scc0 .LBB16_21
; %bb.1:
	s_add_u32 s10, s9, 0
	s_addc_u32 s11, 0, 0
	s_xor_b64 s[10:11], s[10:11], 0
	v_cvt_f32_u32_e32 v1, s10
	v_cvt_f32_u32_e32 v2, s11
	s_sub_u32 s14, 0, s10
	s_subb_u32 s15, 0, s11
	v_fmamk_f32 v1, v2, 0x4f800000, v1
	v_rcp_f32_e32 v1, v1
	v_mul_f32_e32 v1, 0x5f7ffffc, v1
	v_mul_f32_e32 v2, 0x2f800000, v1
	v_trunc_f32_e32 v2, v2
	v_fmamk_f32 v1, v2, 0xcf800000, v1
	v_cvt_u32_f32_e32 v2, v2
	v_cvt_u32_f32_e32 v1, v1
	v_readfirstlane_b32 s12, v2
	v_readfirstlane_b32 s13, v1
	s_mul_i32 s19, s14, s12
	s_mul_hi_u32 s21, s14, s13
	s_mul_i32 s20, s15, s13
	s_add_i32 s19, s21, s19
	s_mul_i32 s22, s14, s13
	s_add_i32 s19, s19, s20
	s_mul_hi_u32 s21, s13, s22
	s_mul_i32 s24, s13, s19
	s_mul_hi_u32 s23, s12, s22
	s_mul_i32 s20, s12, s22
	s_mul_hi_u32 s22, s13, s19
	s_add_u32 s21, s21, s24
	s_addc_u32 s22, 0, s22
	s_mul_hi_u32 s25, s12, s19
	s_add_u32 s20, s21, s20
	s_mul_i32 s19, s12, s19
	s_addc_u32 s20, s22, s23
	s_addc_u32 s21, s25, 0
	s_add_u32 s19, s20, s19
	s_addc_u32 s20, 0, s21
	s_add_u32 s13, s13, s19
	s_cselect_b32 s19, -1, 0
	s_mul_hi_u32 s21, s14, s13
	s_cmp_lg_u32 s19, 0
	s_mul_i32 s19, s14, s13
	s_addc_u32 s12, s12, s20
	s_mul_i32 s15, s15, s13
	s_mul_i32 s14, s14, s12
	s_mul_hi_u32 s20, s13, s19
	s_add_i32 s14, s21, s14
	s_mul_hi_u32 s21, s12, s19
	s_add_i32 s14, s14, s15
	s_mul_i32 s15, s12, s19
	s_mul_i32 s23, s13, s14
	s_mul_hi_u32 s22, s13, s14
	s_add_u32 s20, s20, s23
	s_addc_u32 s22, 0, s22
	s_mul_hi_u32 s19, s12, s14
	s_add_u32 s15, s20, s15
	s_mul_i32 s14, s12, s14
	s_addc_u32 s15, s22, s21
	s_addc_u32 s19, s19, 0
	s_add_u32 s14, s15, s14
	s_addc_u32 s15, 0, s19
	s_add_u32 s19, s13, s14
	s_cselect_b32 s13, -1, 0
	s_cmp_lg_u32 s13, 0
	s_addc_u32 s20, s12, s15
	s_ashr_i32 s12, s17, 31
	s_add_u32 s14, s18, s12
	s_mov_b32 s13, s12
	s_addc_u32 s15, s17, s12
	s_xor_b64 s[14:15], s[14:15], s[12:13]
	s_mul_i32 s21, s14, s20
	s_mul_hi_u32 s22, s14, s19
	s_mul_hi_u32 s17, s14, s20
	;; [unrolled: 1-line block ×3, first 2 shown]
	s_mul_i32 s19, s15, s19
	s_add_u32 s21, s22, s21
	s_addc_u32 s17, 0, s17
	s_mul_hi_u32 s23, s15, s20
	s_add_u32 s19, s21, s19
	s_mul_i32 s20, s15, s20
	s_addc_u32 s17, s17, s24
	s_addc_u32 s19, s23, 0
	s_add_u32 s17, s17, s20
	s_addc_u32 s19, 0, s19
	s_mul_hi_u32 s20, s10, s17
	s_mul_i32 s21, s10, s19
	s_mul_i32 s22, s11, s17
	s_add_i32 s20, s20, s21
	s_mul_i32 s21, s10, s17
	s_add_i32 s20, s20, s22
	s_sub_i32 s22, s15, s20
	s_sub_u32 s14, s14, s21
	s_cselect_b32 s21, -1, 0
	s_cmp_lg_u32 s21, 0
	s_subb_u32 s22, s22, s11
	s_sub_u32 s23, s14, s10
	s_cselect_b32 s24, -1, 0
	s_cmp_lg_u32 s24, 0
	s_subb_u32 s22, s22, 0
	s_cmp_ge_u32 s22, s11
	s_cselect_b32 s24, -1, 0
	s_cmp_ge_u32 s23, s10
	s_cselect_b32 s23, -1, 0
	s_cmp_eq_u32 s22, s11
	s_cselect_b32 s22, s23, s24
	s_add_u32 s23, s17, 1
	s_addc_u32 s24, s19, 0
	s_add_u32 s25, s17, 2
	s_addc_u32 s26, s19, 0
	s_cmp_lg_u32 s22, 0
	s_cselect_b32 s22, s25, s23
	s_cselect_b32 s23, s26, s24
	s_cmp_lg_u32 s21, 0
	s_subb_u32 s15, s15, s20
	s_cmp_ge_u32 s15, s11
	s_cselect_b32 s20, -1, 0
	s_cmp_ge_u32 s14, s10
	s_cselect_b32 s10, -1, 0
	s_cmp_eq_u32 s15, s11
	s_cselect_b32 s10, s10, s20
	s_cmp_lg_u32 s10, 0
	s_cselect_b32 s11, s23, s19
	s_cselect_b32 s10, s22, s17
	s_xor_b64 s[12:13], s[12:13], 0
	s_xor_b64 s[10:11], s[10:11], s[12:13]
	s_sub_u32 s10, s10, s12
	s_load_dwordx4 s[12:15], s[4:5], 0x44
	s_andn2_b32 vcc_lo, exec_lo, s16
	s_cbranch_vccnz .LBB16_3
.LBB16_2:
	v_cvt_f32_u32_e32 v1, s9
	s_sub_i32 s11, 0, s9
	v_rcp_iflag_f32_e32 v1, v1
	v_mul_f32_e32 v1, 0x4f7ffffe, v1
	v_cvt_u32_f32_e32 v1, v1
	v_readfirstlane_b32 s10, v1
	s_mul_i32 s11, s11, s10
	s_mul_hi_u32 s11, s10, s11
	s_add_i32 s10, s10, s11
	s_mul_hi_u32 s10, s18, s10
	s_mul_i32 s11, s10, s9
	s_waitcnt lgkmcnt(0)
	s_add_i32 s15, s10, 1
	s_sub_i32 s11, s18, s11
	s_sub_i32 s16, s11, s9
	s_cmp_ge_u32 s11, s9
	s_cselect_b32 s10, s15, s10
	s_cselect_b32 s11, s16, s11
	s_add_i32 s15, s10, 1
	s_cmp_ge_u32 s11, s9
	s_cselect_b32 s10, s15, s10
.LBB16_3:
	s_add_i32 s11, s6, 1
	s_mov_b32 s16, 0
	s_mul_hi_i32 s17, s3, s11
	s_mul_i32 s11, s3, s11
	s_cmp_lg_u64 s[16:17], 0
	s_cbranch_scc0 .LBB16_22
; %bb.4:
	s_add_u32 s18, s9, 0
	s_addc_u32 s19, 0, 0
	s_xor_b64 s[18:19], s[18:19], 0
	v_cvt_f32_u32_e32 v1, s18
	v_cvt_f32_u32_e32 v2, s19
	s_sub_u32 s21, 0, s18
	s_subb_u32 s22, 0, s19
	v_fmamk_f32 v1, v2, 0x4f800000, v1
	v_rcp_f32_e32 v1, v1
	v_mul_f32_e32 v1, 0x5f7ffffc, v1
	v_mul_f32_e32 v2, 0x2f800000, v1
	v_trunc_f32_e32 v2, v2
	v_fmamk_f32 v1, v2, 0xcf800000, v1
	v_cvt_u32_f32_e32 v2, v2
	v_cvt_u32_f32_e32 v1, v1
	s_waitcnt lgkmcnt(0)
	v_readfirstlane_b32 s15, v2
	v_readfirstlane_b32 s20, v1
	s_mul_i32 s23, s21, s15
	s_mul_hi_u32 s25, s21, s20
	s_mul_i32 s24, s22, s20
	s_add_i32 s23, s25, s23
	s_mul_i32 s26, s21, s20
	s_add_i32 s23, s23, s24
	s_mul_hi_u32 s25, s20, s26
	s_mul_i32 s28, s20, s23
	s_mul_hi_u32 s27, s15, s26
	s_mul_i32 s24, s15, s26
	s_mul_hi_u32 s26, s20, s23
	s_add_u32 s25, s25, s28
	s_addc_u32 s26, 0, s26
	s_mul_hi_u32 s29, s15, s23
	s_add_u32 s24, s25, s24
	s_mul_i32 s23, s15, s23
	s_addc_u32 s24, s26, s27
	s_addc_u32 s25, s29, 0
	s_add_u32 s23, s24, s23
	s_addc_u32 s24, 0, s25
	s_add_u32 s20, s20, s23
	s_cselect_b32 s23, -1, 0
	s_mul_hi_u32 s25, s21, s20
	s_cmp_lg_u32 s23, 0
	s_mul_i32 s23, s21, s20
	s_addc_u32 s15, s15, s24
	s_mul_i32 s22, s22, s20
	s_mul_i32 s21, s21, s15
	s_mul_hi_u32 s24, s20, s23
	s_add_i32 s21, s25, s21
	s_mul_hi_u32 s25, s15, s23
	s_add_i32 s21, s21, s22
	s_mul_i32 s22, s15, s23
	s_mul_i32 s27, s20, s21
	s_mul_hi_u32 s26, s20, s21
	s_add_u32 s24, s24, s27
	s_addc_u32 s26, 0, s26
	s_mul_hi_u32 s23, s15, s21
	s_add_u32 s22, s24, s22
	s_mul_i32 s21, s15, s21
	s_addc_u32 s22, s26, s25
	s_addc_u32 s23, s23, 0
	s_add_u32 s21, s22, s21
	s_addc_u32 s22, 0, s23
	s_add_u32 s24, s20, s21
	s_cselect_b32 s20, -1, 0
	s_cmp_lg_u32 s20, 0
	s_addc_u32 s15, s15, s22
	s_ashr_i32 s20, s17, 31
	s_add_u32 s22, s11, s20
	s_mov_b32 s21, s20
	s_addc_u32 s23, s17, s20
	s_xor_b64 s[22:23], s[22:23], s[20:21]
	s_mul_i32 s25, s22, s15
	s_mul_hi_u32 s26, s22, s24
	s_mul_hi_u32 s17, s22, s15
	;; [unrolled: 1-line block ×3, first 2 shown]
	s_mul_i32 s24, s23, s24
	s_add_u32 s25, s26, s25
	s_addc_u32 s17, 0, s17
	s_mul_hi_u32 s27, s23, s15
	s_add_u32 s24, s25, s24
	s_mul_i32 s15, s23, s15
	s_addc_u32 s17, s17, s28
	s_addc_u32 s24, s27, 0
	s_add_u32 s15, s17, s15
	s_addc_u32 s17, 0, s24
	s_mul_hi_u32 s24, s18, s15
	s_mul_i32 s25, s18, s17
	s_mul_i32 s26, s19, s15
	s_add_i32 s24, s24, s25
	s_mul_i32 s25, s18, s15
	s_add_i32 s24, s24, s26
	s_sub_i32 s26, s23, s24
	s_sub_u32 s22, s22, s25
	s_cselect_b32 s25, -1, 0
	s_cmp_lg_u32 s25, 0
	s_subb_u32 s26, s26, s19
	s_sub_u32 s27, s22, s18
	s_cselect_b32 s28, -1, 0
	s_cmp_lg_u32 s28, 0
	s_subb_u32 s26, s26, 0
	s_cmp_ge_u32 s26, s19
	s_cselect_b32 s28, -1, 0
	s_cmp_ge_u32 s27, s18
	s_cselect_b32 s27, -1, 0
	s_cmp_eq_u32 s26, s19
	s_cselect_b32 s26, s27, s28
	s_add_u32 s27, s15, 1
	s_addc_u32 s28, s17, 0
	s_add_u32 s29, s15, 2
	s_addc_u32 s30, s17, 0
	s_cmp_lg_u32 s26, 0
	s_cselect_b32 s26, s29, s27
	s_cselect_b32 s27, s30, s28
	s_cmp_lg_u32 s25, 0
	s_subb_u32 s23, s23, s24
	s_cmp_ge_u32 s23, s19
	s_cselect_b32 s24, -1, 0
	s_cmp_ge_u32 s22, s18
	s_cselect_b32 s18, -1, 0
	s_cmp_eq_u32 s23, s19
	s_cselect_b32 s18, s18, s24
	s_cmp_lg_u32 s18, 0
	s_cselect_b32 s19, s27, s17
	s_cselect_b32 s18, s26, s15
	s_xor_b64 s[20:21], s[20:21], 0
	s_xor_b64 s[18:19], s[18:19], s[20:21]
	s_sub_u32 s18, s18, s20
	s_andn2_b32 vcc_lo, exec_lo, s16
	s_cbranch_vccnz .LBB16_6
.LBB16_5:
	v_cvt_f32_u32_e32 v1, s9
	s_sub_i32 s16, 0, s9
	v_rcp_iflag_f32_e32 v1, v1
	v_mul_f32_e32 v1, 0x4f7ffffe, v1
	v_cvt_u32_f32_e32 v1, v1
	s_waitcnt lgkmcnt(0)
	v_readfirstlane_b32 s15, v1
	s_mul_i32 s16, s16, s15
	s_mul_hi_u32 s16, s15, s16
	s_add_i32 s15, s15, s16
	s_mul_hi_u32 s15, s11, s15
	s_mul_i32 s16, s15, s9
	s_sub_i32 s11, s11, s16
	s_add_i32 s16, s15, 1
	s_sub_i32 s17, s11, s9
	s_cmp_ge_u32 s11, s9
	s_cselect_b32 s15, s16, s15
	s_cselect_b32 s11, s17, s11
	s_add_i32 s16, s15, 1
	s_cmp_ge_u32 s11, s9
	s_cselect_b32 s18, s16, s15
.LBB16_6:
	s_cmp_eq_u32 s10, s18
	s_waitcnt lgkmcnt(0)
	s_mul_hi_u32 s11, s10, s12
	s_cselect_b32 s15, -1, 0
	s_add_i32 s11, s11, s10
	s_lshr_b32 s11, s11, s13
	s_mul_i32 s16, s11, s14
	s_cmp_eq_u32 s16, s10
	s_mul_hi_u32 s16, s18, s12
	s_cselect_b32 s17, -1, 0
	s_add_i32 s16, s16, s18
	s_lshr_b32 s16, s16, s13
	s_cmp_eq_u32 s11, s16
	s_mul_i32 s16, s16, s14
	s_cselect_b32 s19, -1, 0
	s_cmp_lg_u32 s16, s18
	s_cselect_b32 s16, -1, 0
	s_or_b32 s15, s15, s17
	s_and_b32 s16, s19, s16
	s_or_b32 s15, s15, s16
	s_and_b32 vcc_lo, exec_lo, s15
	s_cbranch_vccnz .LBB16_24
; %bb.7:
	s_load_dwordx8 s[16:23], s[4:5], 0x20
	s_waitcnt lgkmcnt(0)
	s_mul_hi_u32 s15, s10, s16
	s_load_dword s16, s[4:5], 0x40
	s_add_i32 s15, s15, s10
	s_lshr_b32 s15, s15, s17
	s_mul_i32 s17, s15, s18
	s_sub_i32 s17, s10, s17
	s_mul_hi_u32 s18, s17, s19
	s_add_i32 s18, s17, s18
	s_lshr_b32 s20, s18, s20
	s_mul_i32 s18, s20, s21
	s_sub_i32 s17, s17, s18
	s_mul_hi_u32 s18, s17, s22
	s_add_i32 s18, s17, s18
	s_lshr_b32 s22, s18, s23
	s_waitcnt lgkmcnt(0)
	s_mul_i32 s16, s22, s16
	s_sub_i32 s16, s17, s16
	s_mul_hi_u32 s17, s16, s12
	s_add_i32 s16, s16, s17
	s_lshr_b32 s21, s16, s13
	s_add_i32 s21, s21, s7
	s_cmp_lt_i32 s21, s0
	s_cselect_b32 s16, -1, 0
	s_add_i32 s22, s22, s8
	s_cmp_lt_i32 s22, s2
	s_cselect_b32 s17, -1, 0
	s_and_b32 s16, s16, s17
	s_andn2_b32 vcc_lo, exec_lo, s16
	s_cbranch_vccnz .LBB16_24
; %bb.8:
	s_load_dwordx4 s[16:19], s[4:5], 0x0
	s_mov_b32 s4, 0
	s_lshl_b32 s24, s9, 2
	s_mov_b32 s25, s4
	s_add_i32 s8, s7, s8
	s_lshl_b64 s[24:25], s[24:25], 2
	s_mul_i32 s0, s15, s0
	s_mul_i32 s20, s20, s2
	v_cvt_f32_u32_e32 v3, s9
	v_rcp_iflag_f32_e32 v3, v3
	s_waitcnt lgkmcnt(0)
	s_add_u32 s2, s18, s24
	s_addc_u32 s15, s19, s25
	s_add_i32 s0, s21, s0
	s_add_i32 s5, s22, s20
	s_mul_i32 s0, s0, s1
	v_mul_f32_e32 v3, 0x4f7ffffe, v3
	s_add_i32 s5, s5, s0
	s_add_i32 s0, s8, s6
	v_lshl_or_b32 v1, s5, 7, v0
	s_ashr_i32 s1, s0, 31
	v_cvt_u32_f32_e32 v3, v3
	s_lshl_b64 s[0:1], s[0:1], 3
	v_ashrrev_i32_e32 v2, 31, v1
	s_add_u32 s0, s18, s0
	s_addc_u32 s1, s19, s1
	s_load_dwordx2 s[0:1], s[0:1], 0x0
	v_lshlrev_b64 v[1:2], 2, v[1:2]
	v_add_co_u32 v1, vcc_lo, s16, v1
	v_add_co_ci_u32_e64 v2, null, s17, v2, vcc_lo
	s_add_i32 s17, s6, -1
	s_sub_i32 s16, 0, s9
	global_load_dword v4, v[1:2], off
	s_waitcnt lgkmcnt(0)
	v_mov_b32_e32 v5, s1
	v_mov_b32_e32 v6, s0
.LBB16_9:                               ; =>This Inner Loop Header: Depth=1
	s_mul_hi_i32 s5, s17, s3
	s_mul_i32 s6, s17, s3
	s_cmp_lg_u64 s[4:5], 0
	s_mov_b32 s7, -1
                                        ; implicit-def: $sgpr0_sgpr1
	s_cbranch_scc0 .LBB16_11
; %bb.10:                               ;   in Loop: Header=BB16_9 Depth=1
	s_add_u32 s0, s9, 0
	s_addc_u32 s1, 0, 0
	s_xor_b64 s[0:1], s[0:1], 0
	v_cvt_f32_u32_e32 v7, s0
	v_cvt_f32_u32_e32 v8, s1
	s_sub_u32 s21, 0, s0
	s_subb_u32 s22, 0, s1
	v_fmac_f32_e32 v7, 0x4f800000, v8
	v_rcp_f32_e32 v7, v7
	v_mul_f32_e32 v7, 0x5f7ffffc, v7
	v_mul_f32_e32 v8, 0x2f800000, v7
	v_trunc_f32_e32 v8, v8
	v_fmac_f32_e32 v7, 0xcf800000, v8
	v_cvt_u32_f32_e32 v8, v8
	v_cvt_u32_f32_e32 v7, v7
	v_readfirstlane_b32 s7, v8
	v_readfirstlane_b32 s20, v7
	s_mul_i32 s23, s21, s7
	s_mul_hi_u32 s25, s21, s20
	s_mul_i32 s24, s22, s20
	s_add_i32 s23, s25, s23
	s_mul_i32 s26, s21, s20
	s_add_i32 s23, s23, s24
	s_mul_hi_u32 s25, s20, s26
	s_mul_i32 s28, s20, s23
	s_mul_hi_u32 s27, s7, s26
	s_mul_i32 s24, s7, s26
	s_mul_hi_u32 s26, s20, s23
	s_add_u32 s25, s25, s28
	s_addc_u32 s26, 0, s26
	s_mul_hi_u32 s29, s7, s23
	s_add_u32 s24, s25, s24
	s_mul_i32 s23, s7, s23
	s_addc_u32 s24, s26, s27
	s_addc_u32 s25, s29, 0
	s_add_u32 s23, s24, s23
	s_addc_u32 s24, 0, s25
	s_add_u32 s20, s20, s23
	s_cselect_b32 s23, -1, 0
	s_mul_hi_u32 s25, s21, s20
	s_cmp_lg_u32 s23, 0
	s_mul_i32 s23, s21, s20
	s_addc_u32 s7, s7, s24
	s_mul_i32 s22, s22, s20
	s_mul_i32 s21, s21, s7
	s_mul_hi_u32 s24, s20, s23
	s_add_i32 s21, s25, s21
	s_mul_hi_u32 s25, s7, s23
	s_add_i32 s21, s21, s22
	s_mul_i32 s22, s7, s23
	s_mul_i32 s27, s20, s21
	s_mul_hi_u32 s26, s20, s21
	s_add_u32 s24, s24, s27
	s_addc_u32 s26, 0, s26
	s_mul_hi_u32 s23, s7, s21
	s_add_u32 s22, s24, s22
	s_mul_i32 s21, s7, s21
	s_addc_u32 s22, s26, s25
	s_addc_u32 s23, s23, 0
	s_add_u32 s21, s22, s21
	s_addc_u32 s22, 0, s23
	s_add_u32 s24, s20, s21
	s_cselect_b32 s20, -1, 0
	s_cmp_lg_u32 s20, 0
	s_addc_u32 s7, s7, s22
	s_ashr_i32 s20, s5, 31
	s_add_u32 s22, s6, s20
	s_mov_b32 s21, s20
	s_addc_u32 s23, s5, s20
	s_xor_b64 s[22:23], s[22:23], s[20:21]
	s_mul_i32 s25, s22, s7
	s_mul_hi_u32 s26, s22, s24
	s_mul_hi_u32 s5, s22, s7
	;; [unrolled: 1-line block ×3, first 2 shown]
	s_mul_i32 s24, s23, s24
	s_add_u32 s25, s26, s25
	s_addc_u32 s5, 0, s5
	s_mul_hi_u32 s27, s23, s7
	s_add_u32 s24, s25, s24
	s_mul_i32 s7, s23, s7
	s_addc_u32 s5, s5, s28
	s_addc_u32 s24, s27, 0
	s_add_u32 s5, s5, s7
	s_addc_u32 s7, 0, s24
	s_mul_hi_u32 s24, s0, s5
	s_mul_i32 s25, s0, s7
	s_mul_i32 s26, s1, s5
	s_add_i32 s24, s24, s25
	s_mul_i32 s25, s0, s5
	s_add_i32 s24, s24, s26
	s_sub_i32 s26, s23, s24
	s_sub_u32 s22, s22, s25
	s_cselect_b32 s25, -1, 0
	s_cmp_lg_u32 s25, 0
	s_subb_u32 s26, s26, s1
	s_sub_u32 s27, s22, s0
	s_cselect_b32 s28, -1, 0
	s_cmp_lg_u32 s28, 0
	s_subb_u32 s26, s26, 0
	s_cmp_ge_u32 s26, s1
	s_cselect_b32 s28, -1, 0
	s_cmp_ge_u32 s27, s0
	s_cselect_b32 s27, -1, 0
	s_cmp_eq_u32 s26, s1
	s_cselect_b32 s26, s27, s28
	s_add_u32 s27, s5, 1
	s_addc_u32 s28, s7, 0
	s_add_u32 s29, s5, 2
	s_addc_u32 s30, s7, 0
	s_cmp_lg_u32 s26, 0
	s_cselect_b32 s26, s29, s27
	s_cselect_b32 s27, s30, s28
	s_cmp_lg_u32 s25, 0
	s_subb_u32 s23, s23, s24
	s_cmp_ge_u32 s23, s1
	s_cselect_b32 s24, -1, 0
	s_cmp_ge_u32 s22, s0
	s_cselect_b32 s0, -1, 0
	s_cmp_eq_u32 s23, s1
	s_cselect_b32 s0, s0, s24
	s_cmp_lg_u32 s0, 0
	s_cselect_b32 s1, s27, s7
	s_cselect_b32 s0, s26, s5
	s_xor_b64 s[20:21], s[20:21], 0
	s_mov_b32 s7, 0
	s_xor_b64 s[0:1], s[0:1], s[20:21]
	s_sub_u32 s0, s0, s20
.LBB16_11:                              ;   in Loop: Header=BB16_9 Depth=1
	s_andn2_b32 vcc_lo, exec_lo, s7
	s_cbranch_vccnz .LBB16_13
; %bb.12:                               ;   in Loop: Header=BB16_9 Depth=1
	v_readfirstlane_b32 s0, v3
	s_mul_i32 s1, s16, s0
	s_mul_hi_u32 s1, s0, s1
	s_add_i32 s0, s0, s1
	s_mul_hi_u32 s0, s6, s0
	s_mul_i32 s1, s0, s9
	s_add_i32 s5, s0, 1
	s_sub_i32 s1, s6, s1
	s_sub_i32 s6, s1, s9
	s_cmp_ge_u32 s1, s9
	s_cselect_b32 s0, s5, s0
	s_cselect_b32 s1, s6, s1
	s_add_i32 s5, s0, 1
	s_cmp_ge_u32 s1, s9
	s_cselect_b32 s0, s5, s0
.LBB16_13:                              ;   in Loop: Header=BB16_9 Depth=1
	s_cmp_lg_u32 s10, s0
	s_mov_b32 s6, -1
                                        ; implicit-def: $sgpr5
                                        ; implicit-def: $vgpr8
                                        ; implicit-def: $vgpr7
                                        ; implicit-def: $vgpr9
                                        ; implicit-def: $sgpr1
                                        ; implicit-def: $sgpr20
	s_cbranch_scc0 .LBB16_18
; %bb.14:                               ;   in Loop: Header=BB16_9 Depth=1
	s_add_i32 s21, s17, s8
	s_mov_b32 s7, s4
	s_add_i32 s6, s21, s9
	s_mul_hi_u32 s1, s0, s12
	s_lshl_b64 s[6:7], s[6:7], 3
	s_mov_b32 s20, s10
	s_add_u32 s6, s18, s6
	s_addc_u32 s7, s19, s7
	s_add_i32 s1, s1, s0
	s_lshr_b32 s1, s1, s13
	s_mul_i32 s5, s1, s14
	s_cmp_eq_u32 s5, s0
	s_cselect_b32 s5, -1, 0
	s_cmp_lt_u32 s1, s11
	s_cselect_b32 s1, -1, 0
	s_or_b32 s1, s1, s5
	s_mov_b32 s5, -1
	s_and_b32 vcc_lo, exec_lo, s1
	s_mov_b32 s1, s17
	s_cbranch_vccnz .LBB16_16
; %bb.15:                               ;   in Loop: Header=BB16_9 Depth=1
	s_add_i32 s1, s17, -1
	s_mov_b32 s5, 0
	s_mov_b32 s20, s0
.LBB16_16:                              ;   in Loop: Header=BB16_9 Depth=1
	v_lshl_or_b32 v7, s21, 7, v0
	s_load_dwordx2 s[6:7], s[6:7], 0x0
	v_ashrrev_i32_e32 v8, 31, v7
	v_lshlrev_b64 v[7:8], 2, v[7:8]
	v_add_co_u32 v7, vcc_lo, s2, v7
	v_add_co_ci_u32_e64 v8, null, s15, v8, vcc_lo
	s_waitcnt lgkmcnt(0)
	v_max_f32_e64 v9, s6, s6
	global_load_dword v8, v[7:8], off
	v_max_f32_e32 v7, v6, v6
	v_max_f32_e32 v7, v7, v9
	v_sub_f32_e32 v9, s6, v7
	v_sub_f32_e32 v10, v6, v7
	v_mul_f32_e32 v11, 0x3fb8aa3b, v9
	v_mul_f32_e32 v12, 0x3fb8aa3b, v10
	v_cmp_ngt_f32_e32 vcc_lo, 0xc2ce8ed0, v9
	v_fma_f32 v13, 0x3fb8aa3b, v9, -v11
	v_rndne_f32_e32 v14, v11
	v_fma_f32 v15, 0x3fb8aa3b, v10, -v12
	v_rndne_f32_e32 v16, v12
	v_fmac_f32_e32 v13, 0x32a5705f, v9
	v_sub_f32_e32 v11, v11, v14
	v_fmac_f32_e32 v15, 0x32a5705f, v10
	v_sub_f32_e32 v12, v12, v16
	v_add_f32_e32 v11, v11, v13
	v_cvt_i32_f32_e32 v13, v14
	v_add_f32_e32 v12, v12, v15
	v_cvt_i32_f32_e32 v14, v16
	v_exp_f32_e32 v11, v11
	v_exp_f32_e32 v12, v12
	v_ldexp_f32 v11, v11, v13
	v_ldexp_f32 v12, v12, v14
	v_cndmask_b32_e32 v11, 0, v11, vcc_lo
	v_cmp_ngt_f32_e32 vcc_lo, 0xc2ce8ed0, v10
	v_cndmask_b32_e32 v12, 0, v12, vcc_lo
	v_cmp_nlt_f32_e32 vcc_lo, 0x42b17218, v9
	v_cndmask_b32_e32 v11, 0x7f800000, v11, vcc_lo
	v_cmp_nlt_f32_e32 vcc_lo, 0x42b17218, v10
	v_cndmask_b32_e32 v12, 0x7f800000, v12, vcc_lo
	v_cmp_le_f32_e32 vcc_lo, 0xc1a00000, v9
	v_cndmask_b32_e32 v9, 0, v11, vcc_lo
	v_cmp_le_f32_e32 vcc_lo, 0xc1a00000, v10
	v_cndmask_b32_e32 v10, 0, v12, vcc_lo
	s_waitcnt vmcnt(0)
	v_mul_f32_e32 v8, v8, v9
	v_mul_f32_e32 v9, s7, v9
	v_fmac_f32_e32 v8, v4, v10
	v_fmac_f32_e32 v9, v5, v10
	s_cbranch_execz .LBB16_19
.LBB16_17:                              ;   in Loop: Header=BB16_9 Depth=1
	s_andn2_b32 vcc_lo, exec_lo, s5
	s_cbranch_vccnz .LBB16_20
	s_branch .LBB16_23
.LBB16_18:                              ;   in Loop: Header=BB16_9 Depth=1
	s_andn2_b32 vcc_lo, exec_lo, s6
	s_cbranch_vccnz .LBB16_17
.LBB16_19:                              ;   in Loop: Header=BB16_9 Depth=1
	v_mov_b32_e32 v9, v5
	v_mov_b32_e32 v7, v6
	s_waitcnt vmcnt(0)
	v_mov_b32_e32 v8, v4
	s_add_i32 s1, s17, -1
	s_mov_b32 s20, s10
	s_cbranch_execz .LBB16_23
.LBB16_20:                              ;   in Loop: Header=BB16_9 Depth=1
	v_mov_b32_e32 v5, v9
	v_mov_b32_e32 v6, v7
	s_waitcnt vmcnt(0)
	v_mov_b32_e32 v4, v8
	s_mov_b32 s10, s20
	s_mov_b32 s17, s1
	s_branch .LBB16_9
.LBB16_21:
                                        ; implicit-def: $sgpr10_sgpr11
	s_load_dwordx4 s[12:15], s[4:5], 0x44
	s_branch .LBB16_2
.LBB16_22:
                                        ; implicit-def: $sgpr18_sgpr19
	s_branch .LBB16_5
.LBB16_23:
	v_div_scale_f32 v0, null, v9, v9, v8
	v_rcp_f32_e32 v3, v0
	s_waitcnt vmcnt(0)
	v_fma_f32 v4, -v0, v3, 1.0
	v_fmac_f32_e32 v3, v4, v3
	v_div_scale_f32 v4, vcc_lo, v8, v9, v8
	v_mul_f32_e32 v5, v4, v3
	v_fma_f32 v6, -v0, v5, v4
	v_fmac_f32_e32 v5, v6, v3
	v_fma_f32 v0, -v0, v5, v4
	v_div_fmas_f32 v0, v0, v3, v5
	v_div_fixup_f32 v0, v0, v9, v8
	global_store_dword v[1:2], v0, off
.LBB16_24:
	s_endpgm
	.section	.rodata,"a",@progbits
	.p2align	6, 0x0
	.amdhsa_kernel _ZL33flash_attn_stream_k_fixup_generalILi128ELi1ELi1EEvPfPK15HIP_vector_typeIfLj2EEiiiiS1_IjLj3EES5_S5_S5_
		.amdhsa_group_segment_fixed_size 0
		.amdhsa_private_segment_fixed_size 0
		.amdhsa_kernarg_size 336
		.amdhsa_user_sgpr_count 6
		.amdhsa_user_sgpr_private_segment_buffer 1
		.amdhsa_user_sgpr_dispatch_ptr 0
		.amdhsa_user_sgpr_queue_ptr 0
		.amdhsa_user_sgpr_kernarg_segment_ptr 1
		.amdhsa_user_sgpr_dispatch_id 0
		.amdhsa_user_sgpr_flat_scratch_init 0
		.amdhsa_user_sgpr_private_segment_size 0
		.amdhsa_wavefront_size32 1
		.amdhsa_uses_dynamic_stack 0
		.amdhsa_system_sgpr_private_segment_wavefront_offset 0
		.amdhsa_system_sgpr_workgroup_id_x 1
		.amdhsa_system_sgpr_workgroup_id_y 1
		.amdhsa_system_sgpr_workgroup_id_z 1
		.amdhsa_system_sgpr_workgroup_info 0
		.amdhsa_system_vgpr_workitem_id 0
		.amdhsa_next_free_vgpr 17
		.amdhsa_next_free_sgpr 31
		.amdhsa_reserve_vcc 1
		.amdhsa_reserve_flat_scratch 0
		.amdhsa_float_round_mode_32 0
		.amdhsa_float_round_mode_16_64 0
		.amdhsa_float_denorm_mode_32 3
		.amdhsa_float_denorm_mode_16_64 3
		.amdhsa_dx10_clamp 1
		.amdhsa_ieee_mode 1
		.amdhsa_fp16_overflow 0
		.amdhsa_workgroup_processor_mode 1
		.amdhsa_memory_ordered 1
		.amdhsa_forward_progress 1
		.amdhsa_shared_vgpr_count 0
		.amdhsa_exception_fp_ieee_invalid_op 0
		.amdhsa_exception_fp_denorm_src 0
		.amdhsa_exception_fp_ieee_div_zero 0
		.amdhsa_exception_fp_ieee_overflow 0
		.amdhsa_exception_fp_ieee_underflow 0
		.amdhsa_exception_fp_ieee_inexact 0
		.amdhsa_exception_int_div_zero 0
	.end_amdhsa_kernel
	.section	.text._ZL33flash_attn_stream_k_fixup_generalILi128ELi1ELi1EEvPfPK15HIP_vector_typeIfLj2EEiiiiS1_IjLj3EES5_S5_S5_,"axG",@progbits,_ZL33flash_attn_stream_k_fixup_generalILi128ELi1ELi1EEvPfPK15HIP_vector_typeIfLj2EEiiiiS1_IjLj3EES5_S5_S5_,comdat
.Lfunc_end16:
	.size	_ZL33flash_attn_stream_k_fixup_generalILi128ELi1ELi1EEvPfPK15HIP_vector_typeIfLj2EEiiiiS1_IjLj3EES5_S5_S5_, .Lfunc_end16-_ZL33flash_attn_stream_k_fixup_generalILi128ELi1ELi1EEvPfPK15HIP_vector_typeIfLj2EEiiiiS1_IjLj3EES5_S5_S5_
                                        ; -- End function
	.set _ZL33flash_attn_stream_k_fixup_generalILi128ELi1ELi1EEvPfPK15HIP_vector_typeIfLj2EEiiiiS1_IjLj3EES5_S5_S5_.num_vgpr, 17
	.set _ZL33flash_attn_stream_k_fixup_generalILi128ELi1ELi1EEvPfPK15HIP_vector_typeIfLj2EEiiiiS1_IjLj3EES5_S5_S5_.num_agpr, 0
	.set _ZL33flash_attn_stream_k_fixup_generalILi128ELi1ELi1EEvPfPK15HIP_vector_typeIfLj2EEiiiiS1_IjLj3EES5_S5_S5_.numbered_sgpr, 31
	.set _ZL33flash_attn_stream_k_fixup_generalILi128ELi1ELi1EEvPfPK15HIP_vector_typeIfLj2EEiiiiS1_IjLj3EES5_S5_S5_.num_named_barrier, 0
	.set _ZL33flash_attn_stream_k_fixup_generalILi128ELi1ELi1EEvPfPK15HIP_vector_typeIfLj2EEiiiiS1_IjLj3EES5_S5_S5_.private_seg_size, 0
	.set _ZL33flash_attn_stream_k_fixup_generalILi128ELi1ELi1EEvPfPK15HIP_vector_typeIfLj2EEiiiiS1_IjLj3EES5_S5_S5_.uses_vcc, 1
	.set _ZL33flash_attn_stream_k_fixup_generalILi128ELi1ELi1EEvPfPK15HIP_vector_typeIfLj2EEiiiiS1_IjLj3EES5_S5_S5_.uses_flat_scratch, 0
	.set _ZL33flash_attn_stream_k_fixup_generalILi128ELi1ELi1EEvPfPK15HIP_vector_typeIfLj2EEiiiiS1_IjLj3EES5_S5_S5_.has_dyn_sized_stack, 0
	.set _ZL33flash_attn_stream_k_fixup_generalILi128ELi1ELi1EEvPfPK15HIP_vector_typeIfLj2EEiiiiS1_IjLj3EES5_S5_S5_.has_recursion, 0
	.set _ZL33flash_attn_stream_k_fixup_generalILi128ELi1ELi1EEvPfPK15HIP_vector_typeIfLj2EEiiiiS1_IjLj3EES5_S5_S5_.has_indirect_call, 0
	.section	.AMDGPU.csdata,"",@progbits
; Kernel info:
; codeLenInByte = 2900
; TotalNumSgprs: 33
; NumVgprs: 17
; ScratchSize: 0
; MemoryBound: 0
; FloatMode: 240
; IeeeMode: 1
; LDSByteSize: 0 bytes/workgroup (compile time only)
; SGPRBlocks: 0
; VGPRBlocks: 2
; NumSGPRsForWavesPerEU: 33
; NumVGPRsForWavesPerEU: 17
; Occupancy: 16
; WaveLimiterHint : 0
; COMPUTE_PGM_RSRC2:SCRATCH_EN: 0
; COMPUTE_PGM_RSRC2:USER_SGPR: 6
; COMPUTE_PGM_RSRC2:TRAP_HANDLER: 0
; COMPUTE_PGM_RSRC2:TGID_X_EN: 1
; COMPUTE_PGM_RSRC2:TGID_Y_EN: 1
; COMPUTE_PGM_RSRC2:TGID_Z_EN: 1
; COMPUTE_PGM_RSRC2:TIDIG_COMP_CNT: 0
	.section	.text._ZL26flash_attn_combine_resultsILi128EEvPKfPK15HIP_vector_typeIfLj2EEPfi,"axG",@progbits,_ZL26flash_attn_combine_resultsILi128EEvPKfPK15HIP_vector_typeIfLj2EEPfi,comdat
	.globl	_ZL26flash_attn_combine_resultsILi128EEvPKfPK15HIP_vector_typeIfLj2EEPfi ; -- Begin function _ZL26flash_attn_combine_resultsILi128EEvPKfPK15HIP_vector_typeIfLj2EEPfi
	.p2align	8
	.type	_ZL26flash_attn_combine_resultsILi128EEvPKfPK15HIP_vector_typeIfLj2EEPfi,@function
_ZL26flash_attn_combine_resultsILi128EEvPKfPK15HIP_vector_typeIfLj2EEPfi: ; @_ZL26flash_attn_combine_resultsILi128EEvPKfPK15HIP_vector_typeIfLj2EEPfi
; %bb.0:
	s_clause 0x3
	s_load_dwordx2 s[2:3], s[4:5], 0x20
	s_load_dword s9, s[4:5], 0x18
	s_load_dwordx4 s[12:15], s[4:5], 0x0
	s_load_dwordx2 s[10:11], s[4:5], 0x10
	v_lshlrev_b32_e32 v5, 2, v0
	s_mov_b32 s4, exec_lo
	s_waitcnt lgkmcnt(0)
	s_mul_i32 s0, s2, s8
	s_lshl_b32 s1, s9, 1
	s_add_i32 s0, s0, s6
	s_mul_i32 s6, s0, s3
	s_add_i32 s6, s6, s7
	s_mul_i32 s2, s6, s9
	v_cmpx_gt_i32_e64 s1, v0
	s_cbranch_execz .LBB17_3
; %bb.1:
	s_ashr_i32 s3, s2, 31
	v_add_nc_u32_e32 v3, 0, v5
	s_lshl_b64 s[16:17], s[2:3], 3
	v_mov_b32_e32 v4, v0
	s_add_u32 s0, s14, s16
	s_addc_u32 s3, s15, s17
	v_add_co_u32 v1, s0, s0, v5
	v_add_co_ci_u32_e64 v2, null, s3, 0, s0
	s_mov_b32 s3, 0
	.p2align	6
.LBB17_2:                               ; =>This Inner Loop Header: Depth=1
	global_load_dword v6, v[1:2], off
	v_add_nc_u32_e32 v4, 0x80, v4
	v_add_co_u32 v1, vcc_lo, 0x200, v1
	v_add_co_ci_u32_e64 v2, null, 0, v2, vcc_lo
	v_cmp_le_i32_e64 s0, s1, v4
	s_or_b32 s3, s0, s3
	s_waitcnt vmcnt(0)
	ds_write_b32 v3, v6
	v_add_nc_u32_e32 v3, 0x200, v3
	s_andn2_b32 exec_lo, exec_lo, s3
	s_cbranch_execnz .LBB17_2
.LBB17_3:
	s_or_b32 exec_lo, exec_lo, s4
	v_mov_b32_e32 v1, 0
	s_waitcnt lgkmcnt(0)
	s_barrier
	buffer_gl0_inv
	s_cmp_lt_i32 s9, 2
	ds_read_b32 v6, v1
	s_cbranch_scc1 .LBB17_11
; %bb.4:
	s_add_i32 s1, s9, -2
	s_add_i32 s0, s9, -1
	s_cmp_lt_u32 s1, 7
	s_cbranch_scc1 .LBB17_8
; %bb.5:
	s_mov_b32 s3, 0
	s_add_i32 s1, 0, 8
	s_and_b32 s4, s0, -8
	.p2align	6
.LBB17_6:                               ; =>This Inner Loop Header: Depth=1
	v_mov_b32_e32 v9, s1
	s_mov_b32 s5, s3
	s_add_i32 s3, s3, 8
	s_add_i32 s1, s1, 64
	s_cmp_eq_u32 s4, s3
	ds_read2_b32 v[1:2], v9 offset1:2
	ds_read2_b32 v[3:4], v9 offset0:4 offset1:6
	ds_read2_b32 v[7:8], v9 offset0:8 offset1:10
	;; [unrolled: 1-line block ×3, first 2 shown]
	s_waitcnt lgkmcnt(3)
	v_max3_f32 v1, v6, v1, v2
	s_waitcnt lgkmcnt(2)
	v_max3_f32 v1, v1, v3, v4
	;; [unrolled: 2-line block ×4, first 2 shown]
	s_cbranch_scc0 .LBB17_6
; %bb.7:
	s_add_i32 s1, s5, 9
	s_and_b32 s0, s0, 7
	s_cmp_eq_u32 s0, 0
	s_cbranch_scc0 .LBB17_9
	s_branch .LBB17_11
.LBB17_8:
	s_mov_b32 s1, 1
	s_and_b32 s0, s0, 7
	s_cmp_eq_u32 s0, 0
	s_cbranch_scc1 .LBB17_11
.LBB17_9:
	s_lshl_b32 s1, s1, 3
	s_add_i32 s1, s1, 0
.LBB17_10:                              ; =>This Inner Loop Header: Depth=1
	v_mov_b32_e32 v1, s1
	s_waitcnt lgkmcnt(0)
	v_max_f32_e32 v2, v6, v6
	s_add_i32 s0, s0, -1
	s_add_i32 s1, s1, 8
	s_cmp_lg_u32 s0, 0
	ds_read_b32 v1, v1
	s_waitcnt lgkmcnt(0)
	v_max_f32_e32 v1, v1, v1
	v_max_f32_e32 v6, v2, v1
	s_cbranch_scc1 .LBB17_10
.LBB17_11:
	s_cmp_lt_i32 s9, 1
	s_cbranch_scc1 .LBB17_16
; %bb.12:
	s_lshl_b32 s0, s2, 7
	s_ashr_i32 s1, s0, 31
	s_lshl_b64 s[0:1], s[0:1], 2
	s_add_u32 s7, s12, s0
	s_addc_u32 s8, s13, s1
	s_cmp_lt_u32 s9, 8
	s_cbranch_scc1 .LBB17_17
; %bb.13:
	v_or_b32_e32 v1, 0x380, v0
	v_mov_b32_e32 v4, 0
	v_mov_b32_e32 v7, 0
	;; [unrolled: 1-line block ×3, first 2 shown]
	s_and_b32 s12, s9, 0x7ffffff8
	s_mov_b32 s13, 0
	s_mov_b32 s14, 0
.LBB17_14:                              ; =>This Inner Loop Header: Depth=1
	v_add_nc_u32_e32 v3, 0xfffffc80, v1
	v_mov_b32_e32 v2, v4
	v_mov_b32_e32 v21, s14
	s_add_i32 s13, s13, 8
	s_add_i32 s14, s14, 64
	v_lshlrev_b64 v[9:10], 2, v[3:4]
	v_add_nc_u32_e32 v3, 0xfffffd00, v1
	v_lshlrev_b64 v[11:12], 2, v[1:2]
	s_cmp_eq_u32 s12, s13
	v_lshlrev_b64 v[13:14], 2, v[3:4]
	v_add_nc_u32_e32 v3, 0xfffffd80, v1
	v_add_co_u32 v9, vcc_lo, s7, v9
	v_add_co_ci_u32_e64 v10, null, s8, v10, vcc_lo
	v_add_co_u32 v13, vcc_lo, s7, v13
	v_lshlrev_b64 v[15:16], 2, v[3:4]
	v_add_nc_u32_e32 v3, 0xfffffe00, v1
	v_add_co_ci_u32_e64 v14, null, s8, v14, vcc_lo
	s_clause 0x1
	global_load_dword v25, v[9:10], off
	global_load_dword v26, v[13:14], off
	v_lshlrev_b64 v[9:10], 2, v[3:4]
	v_add_nc_u32_e32 v3, 0xfffffe80, v1
	v_add_co_u32 v13, vcc_lo, s7, v15
	v_add_co_ci_u32_e64 v14, null, s8, v16, vcc_lo
	v_add_co_u32 v9, vcc_lo, s7, v9
	v_lshlrev_b64 v[15:16], 2, v[3:4]
	v_add_nc_u32_e32 v3, 0xffffff00, v1
	v_add_co_ci_u32_e64 v10, null, s8, v10, vcc_lo
	s_clause 0x1
	global_load_dword v27, v[13:14], off
	global_load_dword v28, v[9:10], off
	v_lshlrev_b64 v[13:14], 2, v[3:4]
	v_add_nc_u32_e32 v3, 0xffffff80, v1
	v_add_co_u32 v9, vcc_lo, s7, v15
	v_add_co_ci_u32_e64 v10, null, s8, v16, vcc_lo
	v_add_co_u32 v13, vcc_lo, s7, v13
	v_lshlrev_b64 v[2:3], 2, v[3:4]
	v_add_co_ci_u32_e64 v14, null, s8, v14, vcc_lo
	s_clause 0x1
	global_load_dword v29, v[9:10], off
	global_load_dword v30, v[13:14], off
	v_add_co_u32 v2, vcc_lo, s7, v2
	v_add_co_ci_u32_e64 v3, null, s8, v3, vcc_lo
	v_add_co_u32 v9, vcc_lo, s7, v11
	v_add_co_ci_u32_e64 v10, null, s8, v12, vcc_lo
	s_clause 0x1
	global_load_dword v2, v[2:3], off
	global_load_dword v3, v[9:10], off
	ds_read2_b64 v[9:12], v21 offset1:1
	ds_read2_b64 v[13:16], v21 offset0:2 offset1:3
	ds_read2_b64 v[17:20], v21 offset0:4 offset1:5
	;; [unrolled: 1-line block ×3, first 2 shown]
	v_add_nc_u32_e32 v1, 0x400, v1
	s_waitcnt lgkmcnt(3)
	v_sub_f32_e32 v9, v9, v6
	v_sub_f32_e32 v11, v11, v6
	s_waitcnt lgkmcnt(2)
	v_sub_f32_e32 v13, v13, v6
	v_sub_f32_e32 v15, v15, v6
	s_waitcnt lgkmcnt(1)
	v_sub_f32_e32 v17, v17, v6
	v_mul_f32_e32 v31, 0x3fb8aa3b, v9
	v_mul_f32_e32 v32, 0x3fb8aa3b, v11
	;; [unrolled: 1-line block ×4, first 2 shown]
	v_sub_f32_e32 v19, v19, v6
	v_fma_f32 v39, 0x3fb8aa3b, v9, -v31
	v_rndne_f32_e32 v40, v31
	v_fma_f32 v41, 0x3fb8aa3b, v11, -v32
	v_rndne_f32_e32 v42, v32
	v_fma_f32 v43, 0x3fb8aa3b, v13, -v33
	v_fmac_f32_e32 v39, 0x32a5705f, v9
	v_sub_f32_e32 v31, v31, v40
	v_rndne_f32_e32 v44, v33
	v_fmac_f32_e32 v41, 0x32a5705f, v11
	v_sub_f32_e32 v32, v32, v42
	v_fmac_f32_e32 v43, 0x32a5705f, v13
	v_add_f32_e32 v31, v31, v39
	v_sub_f32_e32 v33, v33, v44
	v_mul_f32_e32 v35, 0x3fb8aa3b, v17
	v_add_f32_e32 v32, v32, v41
	v_fma_f32 v45, 0x3fb8aa3b, v15, -v34
	v_exp_f32_e32 v31, v31
	v_rndne_f32_e32 v46, v34
	v_add_f32_e32 v33, v33, v43
	v_cvt_i32_f32_e32 v40, v40
	v_exp_f32_e32 v32, v32
	s_waitcnt lgkmcnt(0)
	v_sub_f32_e32 v21, v21, v6
	v_mul_f32_e32 v36, 0x3fb8aa3b, v19
	v_fma_f32 v47, 0x3fb8aa3b, v17, -v35
	v_rndne_f32_e32 v48, v35
	v_cvt_i32_f32_e32 v42, v42
	v_fmac_f32_e32 v45, 0x32a5705f, v15
	v_sub_f32_e32 v34, v34, v46
	v_exp_f32_e32 v33, v33
	v_ldexp_f32 v31, v31, v40
	v_cmp_ngt_f32_e64 s5, 0xc2ce8ed0, v9
	v_sub_f32_e32 v23, v23, v6
	v_mul_f32_e32 v37, 0x3fb8aa3b, v21
	v_fma_f32 v49, 0x3fb8aa3b, v19, -v36
	v_rndne_f32_e32 v50, v36
	v_cvt_i32_f32_e32 v44, v44
	v_fmac_f32_e32 v47, 0x32a5705f, v17
	v_sub_f32_e32 v35, v35, v48
	v_add_f32_e32 v34, v34, v45
	v_ldexp_f32 v32, v32, v42
	v_cndmask_b32_e64 v31, 0, v31, s5
	v_cmp_ngt_f32_e64 s5, 0xc2ce8ed0, v11
	v_mul_f32_e32 v38, 0x3fb8aa3b, v23
	v_fma_f32 v51, 0x3fb8aa3b, v21, -v37
	v_rndne_f32_e32 v39, v37
	v_fmac_f32_e32 v49, 0x32a5705f, v19
	v_sub_f32_e32 v36, v36, v50
	v_add_f32_e32 v35, v35, v47
	v_exp_f32_e32 v34, v34
	v_ldexp_f32 v33, v33, v44
	v_cmp_ngt_f32_e32 vcc_lo, 0xc2ce8ed0, v13
	v_cndmask_b32_e64 v32, 0, v32, s5
	v_cmp_nlt_f32_e64 s5, 0x42b17218, v9
	v_fma_f32 v41, 0x3fb8aa3b, v23, -v38
	v_rndne_f32_e32 v43, v38
	v_cvt_i32_f32_e32 v46, v46
	v_fmac_f32_e32 v51, 0x32a5705f, v21
	v_sub_f32_e32 v37, v37, v39
	v_add_f32_e32 v36, v36, v49
	v_exp_f32_e32 v35, v35
	v_cndmask_b32_e64 v9, 0x7f800000, v31, s5
	v_cndmask_b32_e32 v31, 0, v33, vcc_lo
	v_cmp_nlt_f32_e32 vcc_lo, 0x42b17218, v11
	v_cvt_i32_f32_e32 v48, v48
	v_fmac_f32_e32 v41, 0x32a5705f, v23
	v_sub_f32_e32 v38, v38, v43
	v_add_f32_e32 v37, v37, v51
	v_exp_f32_e32 v36, v36
	v_ldexp_f32 v34, v34, v46
	v_cmp_ngt_f32_e64 s0, 0xc2ce8ed0, v15
	v_cndmask_b32_e32 v11, 0x7f800000, v32, vcc_lo
	v_fmac_f32_e32 v8, v9, v10
	v_cmp_nlt_f32_e32 vcc_lo, 0x42b17218, v13
	v_cvt_i32_f32_e32 v50, v50
	v_add_f32_e32 v38, v38, v41
	v_exp_f32_e32 v37, v37
	v_ldexp_f32 v35, v35, v48
	v_cmp_ngt_f32_e64 s1, 0xc2ce8ed0, v17
	v_cndmask_b32_e32 v10, 0x7f800000, v31, vcc_lo
	v_fmac_f32_e32 v8, v11, v12
	v_cmp_nlt_f32_e32 vcc_lo, 0x42b17218, v15
	v_cvt_i32_f32_e32 v39, v39
	v_exp_f32_e32 v38, v38
	v_ldexp_f32 v36, v36, v50
	v_cmp_ngt_f32_e64 s2, 0xc2ce8ed0, v19
	v_fmac_f32_e32 v8, v10, v14
	v_cvt_i32_f32_e32 v43, v43
	v_ldexp_f32 v37, v37, v39
	v_cmp_ngt_f32_e64 s3, 0xc2ce8ed0, v21
	v_cmp_ngt_f32_e64 s4, 0xc2ce8ed0, v23
	v_ldexp_f32 v38, v38, v43
	s_waitcnt vmcnt(7)
	v_fmac_f32_e32 v7, v25, v9
	v_cndmask_b32_e64 v9, 0, v34, s0
	s_waitcnt vmcnt(6)
	v_fmac_f32_e32 v7, v26, v11
	v_cndmask_b32_e64 v11, 0, v35, s1
	v_cndmask_b32_e32 v9, 0x7f800000, v9, vcc_lo
	v_cmp_nlt_f32_e32 vcc_lo, 0x42b17218, v17
	v_fmac_f32_e32 v8, v9, v16
	v_cndmask_b32_e32 v11, 0x7f800000, v11, vcc_lo
	v_cmp_nlt_f32_e32 vcc_lo, 0x42b17218, v19
	s_waitcnt vmcnt(5)
	v_fmac_f32_e32 v7, v27, v10
	v_cndmask_b32_e64 v10, 0, v36, s2
	v_fmac_f32_e32 v8, v11, v18
	s_waitcnt vmcnt(4)
	v_fmac_f32_e32 v7, v28, v9
	v_cndmask_b32_e64 v9, 0, v37, s3
	v_cndmask_b32_e32 v10, 0x7f800000, v10, vcc_lo
	v_cmp_nlt_f32_e32 vcc_lo, 0x42b17218, v21
	v_fmac_f32_e32 v8, v10, v20
	v_cndmask_b32_e32 v9, 0x7f800000, v9, vcc_lo
	v_cmp_nlt_f32_e32 vcc_lo, 0x42b17218, v23
	s_waitcnt vmcnt(3)
	v_fmac_f32_e32 v7, v29, v11
	v_cndmask_b32_e64 v11, 0, v38, s4
	v_fmac_f32_e32 v8, v9, v22
	s_waitcnt vmcnt(2)
	v_fmac_f32_e32 v7, v30, v10
	v_cndmask_b32_e32 v10, 0x7f800000, v11, vcc_lo
	s_waitcnt vmcnt(1)
	v_fmac_f32_e32 v7, v2, v9
	v_fmac_f32_e32 v8, v10, v24
	s_waitcnt vmcnt(0)
	v_fmac_f32_e32 v7, v3, v10
	s_cbranch_scc0 .LBB17_14
; %bb.15:
	s_and_b32 s0, s9, 7
	s_cmp_eq_u32 s0, 0
	s_cbranch_scc0 .LBB17_18
	s_branch .LBB17_20
.LBB17_16:
	v_mov_b32_e32 v0, 0x7fc00000
	s_branch .LBB17_21
.LBB17_17:
	v_mov_b32_e32 v7, 0
	v_mov_b32_e32 v8, 0
	s_mov_b32 s12, 0
	s_and_b32 s0, s9, 7
	s_cmp_eq_u32 s0, 0
	s_cbranch_scc1 .LBB17_20
.LBB17_18:
	v_lshl_or_b32 v0, s12, 7, v0
	v_mov_b32_e32 v1, 0
	s_lshl_b32 s1, s12, 3
	s_add_i32 s1, s1, 0
	s_inst_prefetch 0x1
	.p2align	6
.LBB17_19:                              ; =>This Inner Loop Header: Depth=1
	v_lshlrev_b64 v[2:3], 2, v[0:1]
	v_add_nc_u32_e32 v0, 0x80, v0
	s_add_i32 s0, s0, -1
	v_add_co_u32 v2, vcc_lo, s7, v2
	v_add_co_ci_u32_e64 v3, null, s8, v3, vcc_lo
	global_load_dword v4, v[2:3], off
	v_mov_b32_e32 v2, s1
	s_add_i32 s1, s1, 8
	s_cmp_lg_u32 s0, 0
	ds_read_b64 v[2:3], v2
	s_waitcnt lgkmcnt(0)
	v_sub_f32_e32 v2, v2, v6
	v_mul_f32_e32 v9, 0x3fb8aa3b, v2
	v_cmp_ngt_f32_e32 vcc_lo, 0xc2ce8ed0, v2
	v_fma_f32 v10, 0x3fb8aa3b, v2, -v9
	v_rndne_f32_e32 v11, v9
	v_fmac_f32_e32 v10, 0x32a5705f, v2
	v_sub_f32_e32 v9, v9, v11
	v_add_f32_e32 v9, v9, v10
	v_cvt_i32_f32_e32 v10, v11
	v_exp_f32_e32 v9, v9
	v_ldexp_f32 v9, v9, v10
	v_cndmask_b32_e32 v9, 0, v9, vcc_lo
	v_cmp_nlt_f32_e32 vcc_lo, 0x42b17218, v2
	v_cndmask_b32_e32 v2, 0x7f800000, v9, vcc_lo
	v_fmac_f32_e32 v8, v2, v3
	s_waitcnt vmcnt(0)
	v_fmac_f32_e32 v7, v4, v2
	s_cbranch_scc1 .LBB17_19
.LBB17_20:
	s_inst_prefetch 0x2
	v_div_scale_f32 v0, null, v8, v8, v7
	v_rcp_f32_e32 v1, v0
	v_fma_f32 v2, -v0, v1, 1.0
	v_fmac_f32_e32 v1, v2, v1
	v_div_scale_f32 v2, vcc_lo, v7, v8, v7
	v_mul_f32_e32 v3, v2, v1
	v_fma_f32 v4, -v0, v3, v2
	v_fmac_f32_e32 v3, v4, v1
	v_fma_f32 v0, -v0, v3, v2
	v_div_fmas_f32 v0, v0, v1, v3
	v_div_fixup_f32 v0, v0, v8, v7
.LBB17_21:
	s_lshl_b32 s0, s6, 7
	s_ashr_i32 s1, s0, 31
	s_lshl_b64 s[0:1], s[0:1], 2
	s_add_u32 s0, s10, s0
	s_addc_u32 s1, s11, s1
	global_store_dword v5, v0, s[0:1]
	s_endpgm
	.section	.rodata,"a",@progbits
	.p2align	6, 0x0
	.amdhsa_kernel _ZL26flash_attn_combine_resultsILi128EEvPKfPK15HIP_vector_typeIfLj2EEPfi
		.amdhsa_group_segment_fixed_size 0
		.amdhsa_private_segment_fixed_size 0
		.amdhsa_kernarg_size 288
		.amdhsa_user_sgpr_count 6
		.amdhsa_user_sgpr_private_segment_buffer 1
		.amdhsa_user_sgpr_dispatch_ptr 0
		.amdhsa_user_sgpr_queue_ptr 0
		.amdhsa_user_sgpr_kernarg_segment_ptr 1
		.amdhsa_user_sgpr_dispatch_id 0
		.amdhsa_user_sgpr_flat_scratch_init 0
		.amdhsa_user_sgpr_private_segment_size 0
		.amdhsa_wavefront_size32 1
		.amdhsa_uses_dynamic_stack 0
		.amdhsa_system_sgpr_private_segment_wavefront_offset 0
		.amdhsa_system_sgpr_workgroup_id_x 1
		.amdhsa_system_sgpr_workgroup_id_y 1
		.amdhsa_system_sgpr_workgroup_id_z 1
		.amdhsa_system_sgpr_workgroup_info 0
		.amdhsa_system_vgpr_workitem_id 0
		.amdhsa_next_free_vgpr 52
		.amdhsa_next_free_sgpr 18
		.amdhsa_reserve_vcc 1
		.amdhsa_reserve_flat_scratch 0
		.amdhsa_float_round_mode_32 0
		.amdhsa_float_round_mode_16_64 0
		.amdhsa_float_denorm_mode_32 3
		.amdhsa_float_denorm_mode_16_64 3
		.amdhsa_dx10_clamp 1
		.amdhsa_ieee_mode 1
		.amdhsa_fp16_overflow 0
		.amdhsa_workgroup_processor_mode 1
		.amdhsa_memory_ordered 1
		.amdhsa_forward_progress 1
		.amdhsa_shared_vgpr_count 0
		.amdhsa_exception_fp_ieee_invalid_op 0
		.amdhsa_exception_fp_denorm_src 0
		.amdhsa_exception_fp_ieee_div_zero 0
		.amdhsa_exception_fp_ieee_overflow 0
		.amdhsa_exception_fp_ieee_underflow 0
		.amdhsa_exception_fp_ieee_inexact 0
		.amdhsa_exception_int_div_zero 0
	.end_amdhsa_kernel
	.section	.text._ZL26flash_attn_combine_resultsILi128EEvPKfPK15HIP_vector_typeIfLj2EEPfi,"axG",@progbits,_ZL26flash_attn_combine_resultsILi128EEvPKfPK15HIP_vector_typeIfLj2EEPfi,comdat
.Lfunc_end17:
	.size	_ZL26flash_attn_combine_resultsILi128EEvPKfPK15HIP_vector_typeIfLj2EEPfi, .Lfunc_end17-_ZL26flash_attn_combine_resultsILi128EEvPKfPK15HIP_vector_typeIfLj2EEPfi
                                        ; -- End function
	.set _ZL26flash_attn_combine_resultsILi128EEvPKfPK15HIP_vector_typeIfLj2EEPfi.num_vgpr, 52
	.set _ZL26flash_attn_combine_resultsILi128EEvPKfPK15HIP_vector_typeIfLj2EEPfi.num_agpr, 0
	.set _ZL26flash_attn_combine_resultsILi128EEvPKfPK15HIP_vector_typeIfLj2EEPfi.numbered_sgpr, 18
	.set _ZL26flash_attn_combine_resultsILi128EEvPKfPK15HIP_vector_typeIfLj2EEPfi.num_named_barrier, 0
	.set _ZL26flash_attn_combine_resultsILi128EEvPKfPK15HIP_vector_typeIfLj2EEPfi.private_seg_size, 0
	.set _ZL26flash_attn_combine_resultsILi128EEvPKfPK15HIP_vector_typeIfLj2EEPfi.uses_vcc, 1
	.set _ZL26flash_attn_combine_resultsILi128EEvPKfPK15HIP_vector_typeIfLj2EEPfi.uses_flat_scratch, 0
	.set _ZL26flash_attn_combine_resultsILi128EEvPKfPK15HIP_vector_typeIfLj2EEPfi.has_dyn_sized_stack, 0
	.set _ZL26flash_attn_combine_resultsILi128EEvPKfPK15HIP_vector_typeIfLj2EEPfi.has_recursion, 0
	.set _ZL26flash_attn_combine_resultsILi128EEvPKfPK15HIP_vector_typeIfLj2EEPfi.has_indirect_call, 0
	.section	.AMDGPU.csdata,"",@progbits
; Kernel info:
; codeLenInByte = 2264
; TotalNumSgprs: 20
; NumVgprs: 52
; ScratchSize: 0
; MemoryBound: 0
; FloatMode: 240
; IeeeMode: 1
; LDSByteSize: 0 bytes/workgroup (compile time only)
; SGPRBlocks: 0
; VGPRBlocks: 6
; NumSGPRsForWavesPerEU: 20
; NumVGPRsForWavesPerEU: 52
; Occupancy: 16
; WaveLimiterHint : 0
; COMPUTE_PGM_RSRC2:SCRATCH_EN: 0
; COMPUTE_PGM_RSRC2:USER_SGPR: 6
; COMPUTE_PGM_RSRC2:TRAP_HANDLER: 0
; COMPUTE_PGM_RSRC2:TGID_X_EN: 1
; COMPUTE_PGM_RSRC2:TGID_Y_EN: 1
; COMPUTE_PGM_RSRC2:TGID_Z_EN: 1
; COMPUTE_PGM_RSRC2:TIDIG_COMP_CNT: 0
	.section	.text._ZL18flash_attn_ext_vecILi128ELi1EL9ggml_type2ELS0_8ELb1EEvPKcS2_S2_S2_S2_PKiPfP15HIP_vector_typeIfLj2EEffffjfiS6_IjLj3EEiiiiiiiiiiiliiliiiiil,"axG",@progbits,_ZL18flash_attn_ext_vecILi128ELi1EL9ggml_type2ELS0_8ELb1EEvPKcS2_S2_S2_S2_PKiPfP15HIP_vector_typeIfLj2EEffffjfiS6_IjLj3EEiiiiiiiiiiiliiliiiiil,comdat
	.globl	_ZL18flash_attn_ext_vecILi128ELi1EL9ggml_type2ELS0_8ELb1EEvPKcS2_S2_S2_S2_PKiPfP15HIP_vector_typeIfLj2EEffffjfiS6_IjLj3EEiiiiiiiiiiiliiliiiiil ; -- Begin function _ZL18flash_attn_ext_vecILi128ELi1EL9ggml_type2ELS0_8ELb1EEvPKcS2_S2_S2_S2_PKiPfP15HIP_vector_typeIfLj2EEffffjfiS6_IjLj3EEiiiiiiiiiiiliiliiiiil
	.p2align	8
	.type	_ZL18flash_attn_ext_vecILi128ELi1EL9ggml_type2ELS0_8ELb1EEvPKcS2_S2_S2_S2_PKiPfP15HIP_vector_typeIfLj2EEffffjfiS6_IjLj3EEiiiiiiiiiiiliiliiiiil,@function
_ZL18flash_attn_ext_vecILi128ELi1EL9ggml_type2ELS0_8ELb1EEvPKcS2_S2_S2_S2_PKiPfP15HIP_vector_typeIfLj2EEffffjfiS6_IjLj3EEiiiiiiiiiiiliiliiiiil: ; @_ZL18flash_attn_ext_vecILi128ELi1EL9ggml_type2ELS0_8ELb1EEvPKcS2_S2_S2_S2_PKiPfP15HIP_vector_typeIfLj2EEffffjfiS6_IjLj3EEiiiiiiiiiiiliiliiiiil
; %bb.0:
	s_clause 0x4
	s_load_dwordx2 s[28:29], s[4:5], 0x64
	s_load_dwordx2 s[34:35], s[4:5], 0x80
	;; [unrolled: 1-line block ×3, first 2 shown]
	s_load_dwordx4 s[24:27], s[4:5], 0x40
	s_load_dwordx2 s[36:37], s[4:5], 0x50
	v_mov_b32_e32 v33, 1.0
	s_waitcnt lgkmcnt(0)
	v_cvt_f32_u32_e32 v2, s29
	s_sub_i32 s1, 0, s29
	v_rcp_iflag_f32_e32 v2, v2
	v_mul_f32_e32 v2, 0x4f7ffffe, v2
	v_cvt_u32_f32_e32 v2, v2
	v_readfirstlane_b32 s0, v2
	s_mul_i32 s1, s1, s0
	s_mul_hi_u32 s1, s0, s1
	s_add_i32 s0, s0, s1
	s_mul_hi_u32 s0, s8, s0
	s_mul_i32 s1, s0, s29
	s_add_i32 s2, s0, 1
	s_sub_i32 s1, s8, s1
	s_sub_i32 s3, s1, s29
	s_cmp_ge_u32 s1, s29
	s_cselect_b32 s0, s2, s0
	s_cselect_b32 s1, s3, s1
	s_add_i32 s2, s0, 1
	s_cmp_ge_u32 s1, s29
	s_cselect_b32 s33, s2, s0
	s_abs_i32 s0, s35
	s_abs_i32 s9, s29
	v_cvt_f32_u32_e32 v2, s0
	s_sub_i32 s2, 0, s0
	s_xor_b32 s3, s29, s35
	s_ashr_i32 s3, s3, 31
	v_rcp_iflag_f32_e32 v2, v2
	v_mul_f32_e32 v2, 0x4f7ffffe, v2
	v_cvt_u32_f32_e32 v2, v2
	v_readfirstlane_b32 s1, v2
	s_mul_i32 s2, s2, s1
	s_mul_hi_u32 s2, s1, s2
	s_add_i32 s1, s1, s2
	s_mul_i32 s2, s33, s29
	s_mul_hi_u32 s1, s9, s1
	s_sub_i32 s30, s8, s2
	s_mul_i32 s10, s1, s0
	s_add_i32 s8, s1, 1
	s_sub_i32 s2, s9, s10
	s_sub_i32 s9, s2, s0
	s_cmp_ge_u32 s2, s0
	s_cselect_b32 s1, s8, s1
	s_cselect_b32 s2, s9, s2
	s_add_i32 s8, s1, 1
	s_cmp_ge_u32 s2, s0
	s_cselect_b32 s0, s8, s1
	s_abs_i32 s40, s38
	s_xor_b32 s0, s0, s3
	v_cvt_f32_u32_e32 v2, s40
	s_sub_i32 s43, s0, s3
	v_cmp_le_f32_e64 s0, s25, 0
	s_abs_i32 s42, s43
	s_abs_i32 s35, s30
	v_cvt_f32_u32_e32 v3, s42
	v_rcp_iflag_f32_e32 v2, v2
	s_and_b32 vcc_lo, exec_lo, s0
	s_sub_i32 s0, 0, s40
	s_sub_i32 s1, 0, s42
	v_rcp_iflag_f32_e32 v3, v3
	s_abs_i32 s41, s33
	v_mul_f32_e32 v2, 0x4f7ffffe, v2
	v_mul_f32_e32 v3, 0x4f7ffffe, v3
	v_cvt_u32_f32_e32 v2, v2
	v_cvt_u32_f32_e32 v3, v3
	v_readfirstlane_b32 s3, v2
	v_readfirstlane_b32 s25, v3
	s_mul_i32 s0, s0, s3
	s_mul_hi_u32 s0, s3, s0
	s_mul_i32 s1, s1, s25
	s_add_i32 s3, s3, s0
	s_mul_hi_u32 s1, s25, s1
	s_add_i32 s25, s25, s1
	s_cbranch_vccnz .LBB18_2
; %bb.1:
	v_sub_co_u32 v3, vcc_lo, s30, s36
	v_mov_b32_e32 v2, s26
	s_add_i32 s0, s30, 1
	v_lshlrev_b32_e32 v3, 1, v3
	v_cndmask_b32_e32 v2, s27, v2, vcc_lo
	v_or_b32_e32 v3, 1, v3
	v_cndmask_b32_e64 v3, v3, s0, vcc_lo
	v_cmp_neq_f32_e32 vcc_lo, 1.0, v2
	s_mov_b32 s0, 0x3e76c4e1
	v_cvt_f32_i32_e32 v3, v3
	v_cndmask_b32_e32 v4, 1.0, v3, vcc_lo
	v_cmp_neq_f32_e32 vcc_lo, 0, v4
	v_cndmask_b32_e32 v5, 1.0, v2, vcc_lo
	v_frexp_mant_f32_e64 v2, |v5|
	v_cmp_eq_f32_e64 s2, 0, v5
	v_cmp_gt_f32_e32 vcc_lo, 0x3f2aaaab, v2
	v_cndmask_b32_e64 v3, 1.0, 2.0, vcc_lo
	v_mul_f32_e32 v2, v2, v3
	v_add_f32_e32 v3, 1.0, v2
	v_add_f32_e32 v7, -1.0, v2
	v_rcp_f32_e32 v6, v3
	v_add_f32_e32 v9, -1.0, v3
	v_sub_f32_e32 v2, v2, v9
	v_mul_f32_e32 v8, v7, v6
	v_mul_f32_e32 v10, v3, v8
	v_fma_f32 v3, v8, v3, -v10
	v_fmac_f32_e32 v3, v8, v2
	v_add_f32_e32 v2, v10, v3
	v_sub_f32_e32 v9, v7, v2
	v_sub_f32_e32 v10, v2, v10
	;; [unrolled: 1-line block ×5, first 2 shown]
	v_add_f32_e32 v2, v3, v2
	v_add_f32_e32 v2, v9, v2
	v_mul_f32_e32 v2, v6, v2
	v_add_f32_e32 v6, v8, v2
	v_sub_f32_e32 v3, v6, v8
	v_mul_f32_e32 v7, v6, v6
	v_sub_f32_e32 v8, v2, v3
	v_fma_f32 v2, v6, v6, -v7
	v_add_f32_e32 v3, v8, v8
	v_fmac_f32_e32 v2, v6, v3
	v_add_f32_e32 v9, v7, v2
	v_fmaak_f32 v3, s0, v9, 0x3e91f4c4
	v_sub_f32_e32 v7, v9, v7
	v_mul_f32_e32 v14, v6, v9
	v_fmaak_f32 v3, v9, v3, 0x3ecccdef
	v_sub_f32_e32 v7, v2, v7
	v_fma_f32 v15, v9, v6, -v14
	v_mul_f32_e32 v10, v9, v3
	v_fmac_f32_e32 v15, v9, v8
	v_ldexp_f32 v8, v8, 1
	v_fma_f32 v11, v9, v3, -v10
	v_fmac_f32_e32 v15, v7, v6
	v_fmac_f32_e32 v11, v7, v3
	v_cvt_f64_f32_e64 v[2:3], |v5|
	v_add_f32_e32 v12, v10, v11
	v_sub_f32_e32 v10, v12, v10
	v_add_f32_e32 v13, 0x3f2aaaaa, v12
	v_sub_f32_e32 v10, v11, v10
	v_add_f32_e32 v11, 0xbf2aaaaa, v13
	v_add_f32_e32 v10, 0x31739010, v10
	v_sub_f32_e32 v11, v12, v11
	v_frexp_exp_i32_f64_e32 v2, v[2:3]
	v_add_f32_e32 v9, v10, v11
	v_add_f32_e32 v10, v14, v15
	;; [unrolled: 1-line block ×3, first 2 shown]
	v_sub_f32_e32 v12, v10, v14
	v_sub_f32_e32 v3, v13, v7
	v_mul_f32_e32 v11, v10, v7
	v_sub_f32_e32 v12, v15, v12
	v_add_f32_e32 v3, v9, v3
	v_fma_f32 v9, v10, v7, -v11
	v_subrev_co_ci_u32_e64 v2, null, 0, v2, vcc_lo
	v_fmac_f32_e32 v9, v10, v3
	v_ldexp_f32 v3, v6, 1
	v_cvt_f32_i32_e32 v2, v2
	v_fmac_f32_e32 v9, v12, v7
	v_add_f32_e32 v6, v11, v9
	v_add_f32_e32 v7, v3, v6
	v_sub_f32_e32 v10, v6, v11
	v_mul_f32_e32 v11, 0x3f317218, v2
	v_sub_f32_e32 v3, v7, v3
	v_sub_f32_e32 v9, v9, v10
	v_fma_f32 v10, 0x3f317218, v2, -v11
	v_sub_f32_e32 v3, v6, v3
	v_add_f32_e32 v6, v8, v9
	v_fmamk_f32 v2, v2, 0xb102e308, v10
	v_add_f32_e32 v3, v6, v3
	v_add_f32_e32 v6, v11, v2
	;; [unrolled: 1-line block ×3, first 2 shown]
	v_sub_f32_e32 v11, v6, v11
	v_add_f32_e32 v9, v6, v8
	v_sub_f32_e32 v7, v8, v7
	v_sub_f32_e32 v2, v2, v11
	;; [unrolled: 1-line block ×6, first 2 shown]
	v_add_f32_e32 v8, v2, v3
	v_sub_f32_e32 v6, v6, v12
	v_add_f32_e32 v6, v7, v6
	v_sub_f32_e32 v7, v8, v2
	;; [unrolled: 2-line block ×3, first 2 shown]
	v_sub_f32_e32 v3, v3, v7
	v_add_f32_e32 v10, v9, v6
	v_sub_f32_e32 v2, v2, v8
	v_sub_f32_e32 v7, v10, v9
	v_add_f32_e32 v2, v3, v2
	v_sub_f32_e32 v3, v6, v7
	v_add_f32_e32 v2, v2, v3
	v_add_f32_e32 v3, v10, v2
	v_sub_f32_e32 v6, v3, v10
	v_mul_f32_e32 v7, v4, v3
	v_sub_f32_e32 v2, v2, v6
	v_fma_f32 v3, v4, v3, -v7
	v_cmp_class_f32_e64 vcc_lo, v7, 0x204
	v_fmac_f32_e32 v3, v4, v2
	v_add_f32_e32 v2, v7, v3
	v_cndmask_b32_e32 v6, v2, v7, vcc_lo
	v_sub_f32_e32 v2, v2, v7
	v_cmp_eq_f32_e32 vcc_lo, 0x42b17218, v6
	v_sub_f32_e32 v2, v3, v2
	v_cndmask_b32_e64 v8, 0, 0x37000000, vcc_lo
	v_cmp_neq_f32_e64 vcc_lo, 0x7f800000, |v6|
	v_sub_f32_e32 v9, v6, v8
	v_cndmask_b32_e32 v2, 0, v2, vcc_lo
	v_trunc_f32_e32 v6, v4
	v_mul_f32_e32 v10, 0x3fb8aa3b, v9
	v_cmp_ngt_f32_e32 vcc_lo, 0xc2ce8ed0, v9
	v_add_f32_e32 v2, v8, v2
	v_fma_f32 v11, 0x3fb8aa3b, v9, -v10
	v_rndne_f32_e32 v12, v10
	v_fmamk_f32 v11, v9, 0x32a5705f, v11
	v_sub_f32_e32 v10, v10, v12
	v_cvt_i32_f32_e32 v7, v12
	v_add_f32_e32 v10, v10, v11
	v_exp_f32_e32 v10, v10
	v_ldexp_f32 v3, v10, v7
	v_mul_f32_e32 v7, 0.5, v4
	v_cndmask_b32_e32 v3, 0, v3, vcc_lo
	v_cmp_nlt_f32_e32 vcc_lo, 0x42b17218, v9
	v_trunc_f32_e32 v10, v7
	v_cndmask_b32_e32 v3, 0x7f800000, v3, vcc_lo
	v_cmp_eq_f32_e32 vcc_lo, v6, v4
	v_cmp_neq_f32_e64 s0, v10, v7
	v_fma_f32 v2, v3, v2, v3
	v_cmp_class_f32_e64 s1, v3, 0x204
	s_and_b32 s0, vcc_lo, s0
	v_cndmask_b32_e64 v6, 1.0, v5, s0
	v_cndmask_b32_e64 v2, v2, v3, s1
	v_cmp_gt_f32_e64 s1, 0, v4
	v_bfi_b32 v2, 0x7fffffff, v2, v6
	s_xor_b32 s1, s1, s2
	v_cndmask_b32_e64 v6, 0, v5, s0
	v_cndmask_b32_e64 v3, 0x7f800000, 0, s1
	v_cmp_class_f32_e64 s0, v5, 0x204
	v_cndmask_b32_e32 v4, 0x7fc00000, v2, vcc_lo
	v_cmp_gt_f32_e32 vcc_lo, 0, v5
	v_bfi_b32 v3, 0x7fffffff, v3, v6
	v_cndmask_b32_e32 v2, v2, v4, vcc_lo
	s_or_b32 vcc_lo, s2, s0
	v_cndmask_b32_e32 v2, v2, v3, vcc_lo
	v_cmp_o_f32_e32 vcc_lo, v5, v5
	v_cndmask_b32_e32 v33, 0x7fc00000, v2, vcc_lo
.LBB18_2:
	s_load_dwordx16 s[8:23], s[4:5], 0x0
	v_cmp_eq_u32_e64 s0, 0, v1
	v_mbcnt_lo_u32_b32 v32, -1, 0
	s_mul_hi_u32 s36, s35, s25
	s_mul_hi_u32 s38, s41, s3
	s_and_saveexec_b32 s25, s0
	s_cbranch_execz .LBB18_7
; %bb.3:
	s_load_dwordx4 s[44:47], s[4:5], 0x70
	v_lshlrev_b32_e32 v2, 4, v0
	v_xor_b32_e32 v13, 1, v32
	s_waitcnt lgkmcnt(0)
	s_mul_i32 s1, s33, s46
	s_mul_i32 s2, s44, s6
	;; [unrolled: 1-line block ×3, first 2 shown]
	s_add_i32 s1, s1, s2
	s_add_i32 s1, s1, s3
	s_ashr_i32 s3, s1, 31
	s_add_u32 s2, s8, s1
	s_addc_u32 s3, s9, s3
	s_mov_b32 s8, exec_lo
	global_load_dwordx4 v[9:12], v2, s[2:3]
	v_xor_b32_e32 v2, 4, v32
	v_cmp_gt_i32_e32 vcc_lo, 32, v2
	v_cndmask_b32_e32 v2, v32, v2, vcc_lo
	v_lshlrev_b32_e32 v2, 2, v2
	s_waitcnt vmcnt(0)
	v_mul_f32_e32 v4, s24, v9
	v_mul_f32_e32 v6, s24, v10
	;; [unrolled: 1-line block ×4, first 2 shown]
	v_xor_b32_e32 v10, 2, v32
	v_max_f32_e64 v3, |v4|, |v6|
	v_fma_f32 v9, s24, v9, v6
	v_cmp_gt_i32_e32 vcc_lo, 32, v10
	v_max3_f32 v3, v3, |v8|, |v7|
	v_fmac_f32_e32 v9, s24, v11
	v_cndmask_b32_e32 v10, v32, v10, vcc_lo
	v_cmp_gt_i32_e32 vcc_lo, 32, v13
	ds_bpermute_b32 v5, v2, v3
	v_fmac_f32_e32 v9, s24, v12
	v_lshlrev_b32_e32 v10, 2, v10
	v_cndmask_b32_e32 v13, v32, v13, vcc_lo
	ds_bpermute_b32 v2, v2, v9
	v_lshlrev_b32_e32 v13, 2, v13
	s_waitcnt lgkmcnt(1)
	v_max_f32_e32 v5, v5, v5
	v_max_f32_e32 v3, v3, v5
	s_waitcnt lgkmcnt(0)
	v_add_f32_e32 v2, v9, v2
	ds_bpermute_b32 v5, v10, v3
	s_waitcnt lgkmcnt(0)
	v_max_f32_e32 v5, v5, v5
	v_max_f32_e32 v3, v3, v5
	ds_bpermute_b32 v5, v13, v3
	s_waitcnt lgkmcnt(0)
	v_max_f32_e32 v5, v5, v5
	v_max_f32_e32 v11, v3, v5
	ds_bpermute_b32 v5, v10, v2
	v_div_scale_f32 v12, null, 0x42fe0000, 0x42fe0000, v11
	v_div_scale_f32 v9, vcc_lo, v11, 0x42fe0000, v11
	v_rcp_f32_e32 v14, v12
	v_fma_f32 v3, -v12, v14, 1.0
	v_fmac_f32_e32 v14, v3, v14
	s_waitcnt lgkmcnt(0)
	v_add_f32_e32 v3, v2, v5
	v_mul_f32_e32 v10, v9, v14
	ds_bpermute_b32 v5, v13, v3
	v_fma_f32 v15, -v12, v10, v9
	v_fmac_f32_e32 v10, v15, v14
	v_fma_f32 v2, -v12, v10, v9
	v_mov_b32_e32 v9, 0
	v_div_fmas_f32 v2, v2, v14, v10
	v_div_fixup_f32 v2, v2, 0x42fe0000, v11
	v_cmpx_neq_f32_e32 0, v2
	s_cbranch_execz .LBB18_5
; %bb.4:
	v_div_scale_f32 v9, null, v2, v2, v4
	v_div_scale_f32 v10, null, v2, v2, v6
	;; [unrolled: 1-line block ×3, first 2 shown]
	v_rcp_f32_e32 v11, v9
	v_div_scale_f32 v13, null, v2, v2, v7
	v_rcp_f32_e32 v14, v10
	v_rcp_f32_e32 v15, v12
	v_div_scale_f32 v19, vcc_lo, v4, v2, v4
	v_rcp_f32_e32 v16, v13
	v_fma_f32 v17, -v9, v11, 1.0
	v_fma_f32 v18, -v10, v14, 1.0
	;; [unrolled: 1-line block ×3, first 2 shown]
	v_fmac_f32_e32 v11, v17, v11
	v_div_scale_f32 v17, s1, v6, v2, v6
	v_fma_f32 v21, -v13, v16, 1.0
	v_fmac_f32_e32 v14, v18, v14
	v_fmac_f32_e32 v15, v20, v15
	v_div_scale_f32 v18, s2, v8, v2, v8
	v_fmac_f32_e32 v16, v21, v16
	v_mul_f32_e32 v21, v19, v11
	v_mul_f32_e32 v22, v17, v14
	v_mul_f32_e32 v23, v18, v15
	v_div_scale_f32 v20, s3, v7, v2, v7
	v_fma_f32 v25, -v9, v21, v19
	v_fma_f32 v26, -v10, v22, v17
	;; [unrolled: 1-line block ×3, first 2 shown]
	v_mul_f32_e32 v24, v20, v16
	v_fmac_f32_e32 v21, v25, v11
	v_fmac_f32_e32 v22, v26, v14
	;; [unrolled: 1-line block ×3, first 2 shown]
	v_fma_f32 v28, -v13, v24, v20
	v_fma_f32 v9, -v9, v21, v19
	;; [unrolled: 1-line block ×4, first 2 shown]
	v_fmac_f32_e32 v24, v28, v16
	v_div_fmas_f32 v9, v9, v11, v21
	s_mov_b32 vcc_lo, s1
	v_div_fmas_f32 v10, v10, v14, v22
	s_mov_b32 vcc_lo, s2
	v_div_fixup_f32 v4, v9, v2, v4
	v_div_fmas_f32 v11, v12, v15, v23
	v_fma_f32 v12, -v13, v24, v20
	s_mov_b32 vcc_lo, s3
	v_div_fixup_f32 v6, v10, v2, v6
	v_div_fixup_f32 v8, v11, v2, v8
	v_div_fmas_f32 v11, v12, v16, v24
	v_trunc_f32_e32 v10, v6
	v_trunc_f32_e32 v12, v8
	v_div_fixup_f32 v7, v11, v2, v7
	v_trunc_f32_e32 v11, v4
	v_sub_f32_e32 v14, v6, v10
	v_sub_f32_e32 v9, v8, v12
	v_trunc_f32_e32 v13, v7
	v_sub_f32_e32 v16, v4, v11
	v_cmp_ge_f32_e64 s1, |v9|, 0.5
	v_sub_f32_e32 v15, v7, v13
	v_cndmask_b32_e64 v9, 0, 1.0, s1
	v_cmp_ge_f32_e64 s1, |v14|, 0.5
	v_bfi_b32 v8, 0x7fffffff, v9, v8
	v_cndmask_b32_e64 v9, 0, 1.0, s1
	v_cmp_ge_f32_e64 s1, |v15|, 0.5
	v_add_f32_e32 v8, v12, v8
	v_bfi_b32 v6, 0x7fffffff, v9, v6
	v_cndmask_b32_e64 v14, 0, 1.0, s1
	v_cmp_ge_f32_e64 s1, |v16|, 0.5
	v_mov_b32_e32 v9, 8
	v_cvt_i32_f32_e32 v8, v8
	v_add_f32_e32 v6, v10, v6
	v_bfi_b32 v7, 0x7fffffff, v14, v7
	v_cndmask_b32_e64 v12, 0, 1.0, s1
	v_and_b32_e32 v8, 0xff, v8
	v_cvt_i32_f32_e32 v6, v6
	v_add_f32_e32 v7, v13, v7
	v_bfi_b32 v4, 0x7fffffff, v12, v4
	v_lshlrev_b32_e32 v8, 16, v8
	v_lshlrev_b32_sdwa v6, v9, v6 dst_sel:DWORD dst_unused:UNUSED_PAD src0_sel:DWORD src1_sel:BYTE_0
	v_cvt_i32_f32_e32 v7, v7
	v_add_f32_e32 v4, v11, v4
	v_lshl_or_b32 v7, v7, 24, v8
	v_cvt_i32_f32_e32 v4, v4
	v_and_b32_e32 v4, 0xff, v4
	v_or3_b32 v9, v7, v6, v4
.LBB18_5:
	s_or_b32 exec_lo, exec_lo, s8
	v_and_b32_e32 v4, 7, v0
	v_lshlrev_b32_e32 v6, 2, v0
	v_cmp_eq_u32_e32 vcc_lo, 0, v4
	ds_write_b32 v6, v9
	s_and_b32 exec_lo, exec_lo, vcc_lo
	s_cbranch_execz .LBB18_7
; %bb.6:
	s_waitcnt lgkmcnt(1)
	v_add_f32_e32 v3, v3, v5
	ds_write_b64 v0, v[2:3] offset:128
.LBB18_7:
	s_or_b32 exec_lo, exec_lo, s25
	v_and_b32_e32 v12, 1, v0
	v_mov_b32_e32 v37, 0
	s_waitcnt lgkmcnt(0)
	s_barrier
	buffer_gl0_inv
	v_lshlrev_b32_e32 v10, 2, v12
	s_ashr_i32 s31, s30, 31
	s_ashr_i32 s1, s43, 31
	;; [unrolled: 1-line block ×3, first 2 shown]
	s_cmp_eq_u64 s[18:19], 0
	ds_read2_b32 v[14:15], v10 offset1:2
	ds_read2_b32 v[16:17], v10 offset0:4 offset1:6
	ds_read2_b32 v[18:19], v10 offset0:8 offset1:10
	;; [unrolled: 1-line block ×3, first 2 shown]
	ds_read_b128 v[2:5], v37 offset:128
	ds_read_b128 v[6:9], v37 offset:144
	ds_read2_b32 v[22:23], v10 offset0:16 offset1:18
	ds_read2_b32 v[24:25], v10 offset0:20 offset1:22
	;; [unrolled: 1-line block ×4, first 2 shown]
	s_waitcnt lgkmcnt(0)
	s_barrier
	buffer_gl0_inv
	s_cbranch_scc1 .LBB18_9
; %bb.8:
	s_load_dword s2, s[4:5], 0xd0
	s_mov_b32 s3, 0
	s_waitcnt lgkmcnt(0)
	s_mul_i32 s2, s2, s33
	s_add_i32 s2, s2, s6
	s_lshl_b64 s[2:3], s[2:3], 2
	s_add_u32 s2, s18, s2
	s_addc_u32 s3, s19, s3
	s_load_dword s34, s[2:3], 0x0
.LBB18_9:
	v_lshlrev_b32_e32 v11, 5, v1
	v_lshlrev_b32_e32 v36, 2, v0
	s_lshl_b32 s2, s7, 7
	s_mov_b32 s3, 0
	s_waitcnt lgkmcnt(0)
	s_cmp_ge_i32 s2, s34
	v_add_nc_u32_e32 v34, v11, v0
	v_lshlrev_b32_e32 v35, 1, v34
	s_cbranch_scc1 .LBB18_25
; %bb.10:
	s_clause 0x1
	s_load_dwordx4 s[24:27], s[4:5], 0x98
	s_load_dwordx2 s[18:19], s[4:5], 0x8c
	s_mul_i32 s45, s36, s42
	s_xor_b32 s43, s31, s1
	s_sub_i32 s45, s35, s45
	s_add_i32 s46, s36, 1
	s_mul_i32 s47, s38, s40
	s_mul_i32 s48, s39, s6
	s_clause 0x2
	s_load_dwordx2 s[38:39], s[4:5], 0xa8
	s_load_dwordx2 s[8:9], s[4:5], 0xc8
	s_load_dword s49, s[4:5], 0xd4
	v_and_b32_e32 v13, 0x7e, v0
	v_bfe_u32 v30, v0, 3, 27
	v_cmp_eq_u32_e64 s1, 0, v12
	v_and_b32_e32 v44, 28, v36
	v_add_nc_u32_e32 v48, 31, v11
	v_add_nc_u32_e32 v12, v11, v13
	v_mul_hi_u32_u24_e32 v31, 34, v30
	v_mul_u32_u24_e32 v30, 34, v30
	v_add_nc_u32_e32 v54, 29, v11
	v_add_nc_u32_e32 v68, 28, v11
	v_lshlrev_b32_e32 v13, 1, v12
	s_waitcnt lgkmcnt(0)
	s_mul_hi_u32 s35, s24, s33
	s_mul_i32 s50, s24, s44
	s_mul_i32 s25, s25, s33
	s_add_i32 s35, s35, s50
	s_sub_i32 s50, s45, s42
	s_add_i32 s35, s35, s25
	s_cmp_ge_u32 s45, s42
	v_mul_lo_u32 v45, v11, s26
	s_cselect_b32 s25, s46, s36
	s_cselect_b32 s36, s50, s45
	s_add_i32 s45, s25, 1
	s_cmp_ge_u32 s36, s42
	v_mad_u64_u32 v[42:43], null, s38, s33, v[30:31]
	s_cselect_b32 s25, s45, s25
	s_sub_i32 s45, s41, s47
	s_xor_b32 s25, s25, s43
	v_add_nc_u32_e32 v38, s26, v45
	s_sub_i32 s41, s25, s43
	s_sub_i32 s25, s45, s40
	s_mul_i32 s36, s41, s19
	s_mul_i32 s41, s41, s27
	s_ashr_i32 s27, s36, 31
	s_ashr_i32 s42, s41, 31
	s_cmp_ge_u32 s45, s40
	v_add_nc_u32_e32 v39, s26, v38
	s_cselect_b32 s19, s25, s45
	v_ashrrev_i32_e32 v46, 31, v45
	s_sub_i32 s25, s19, s40
	s_cmp_ge_u32 s19, s40
	v_add_nc_u32_e32 v40, s26, v39
	s_cselect_b32 s19, s25, s19
	s_ashr_i32 s45, s48, 31
	s_xor_b32 s19, s19, s44
	v_mul_lo_u32 v68, s26, v68
	s_sub_i32 s19, s19, s44
	v_add_nc_u32_e32 v41, s26, v40
	s_ashr_i32 s25, s19, 31
	s_mul_hi_u32 s40, s8, s19
	s_mul_i32 s25, s8, s25
	s_mul_i32 s9, s9, s19
	s_add_i32 s25, s40, s25
	v_add_nc_u32_e32 v69, 26, v11
	s_add_i32 s25, s25, s9
	s_cmp_lg_u64 s[14:15], 0
	s_mul_i32 s9, s8, s19
	s_cselect_b32 s19, -1, 0
	s_lshl_b32 s8, s49, 7
	s_add_u32 s43, s10, s36
	s_addc_u32 s40, s11, s27
	s_lshl_b64 s[46:47], s[2:3], 1
	v_ashrrev_i32_e32 v110, 31, v68
	s_add_u32 s9, s9, s46
	s_addc_u32 s25, s25, s47
	s_add_u32 s14, s14, s48
	s_addc_u32 s15, s15, s45
	;; [unrolled: 2-line block ×3, first 2 shown]
	v_add_co_u32 v13, s9, s9, v13
	s_mul_i32 s15, s39, s33
	s_mul_i32 s25, s38, s44
	v_add_co_ci_u32_e64 v31, null, s14, 0, s9
	v_add3_u32 v43, s25, s15, v43
	v_add_co_u32 v30, vcc_lo, v13, 2
	v_add_co_ci_u32_e64 v31, null, 0, v31, vcc_lo
	v_add_co_u32 v13, vcc_lo, v42, v45
	v_add_co_ci_u32_e64 v37, null, v43, v46, vcc_lo
	;; [unrolled: 2-line block ×3, first 2 shown]
	v_add_nc_u32_e32 v74, 24, v11
	v_add_co_u32 v52, vcc_lo, v44, v45
	v_mul_lo_u32 v45, s26, v48
	v_add_co_ci_u32_e64 v53, null, v47, v46, vcc_lo
	v_add_nc_u32_e32 v46, s26, v41
	v_add_nc_u32_e32 v48, 30, v11
	v_add_co_u32 v42, vcc_lo, v42, s41
	v_add_co_ci_u32_e64 v43, null, s42, v43, vcc_lo
	v_add_nc_u32_e32 v49, s26, v46
	v_add_co_u32 v44, vcc_lo, v44, s41
	v_add_co_ci_u32_e64 v47, null, s42, v47, vcc_lo
	v_ashrrev_i32_e32 v50, 31, v45
	v_mul_lo_u32 v48, s26, v48
	v_add_nc_u32_e32 v51, s26, v49
	v_add_co_u32 v58, vcc_lo, v44, v45
	v_add_co_ci_u32_e64 v59, null, v47, v50, vcc_lo
	v_add_co_u32 v60, vcc_lo, v42, v45
	v_add_co_ci_u32_e64 v61, null, v43, v50, vcc_lo
	v_mul_lo_u32 v50, s26, v54
	v_add_nc_u32_e32 v55, s26, v51
	v_ashrrev_i32_e32 v45, 31, v48
	v_add_co_u32 v62, vcc_lo, v44, v48
	v_add_nc_u32_e32 v76, 23, v11
	v_add_nc_u32_e32 v54, s26, v55
	v_add_co_ci_u32_e64 v63, null, v47, v45, vcc_lo
	v_add_co_u32 v64, vcc_lo, v42, v48
	v_add_nc_u32_e32 v48, 27, v11
	v_add_co_ci_u32_e64 v65, null, v43, v45, vcc_lo
	v_ashrrev_i32_e32 v45, 31, v50
	v_add_nc_u32_e32 v56, s26, v54
	v_add_co_u32 v66, vcc_lo, v44, v50
	v_mul_lo_u32 v48, s26, v48
	v_add_co_ci_u32_e64 v67, null, v47, v45, vcc_lo
	v_add_co_u32 v71, vcc_lo, v42, v50
	v_add_co_ci_u32_e64 v72, null, v43, v45, vcc_lo
	v_mul_lo_u32 v45, s26, v69
	v_add_nc_u32_e32 v69, 25, v11
	v_add_nc_u32_e32 v57, s26, v56
	v_add_co_u32 v112, vcc_lo, v44, v68
	v_ashrrev_i32_e32 v73, 31, v48
	v_mul_lo_u32 v69, s26, v69
	v_add_nc_u32_e32 v70, s26, v57
	v_add_co_ci_u32_e64 v113, null, v47, v110, vcc_lo
	v_add_co_u32 v114, vcc_lo, v42, v68
	v_add_co_ci_u32_e64 v110, null, v43, v110, vcc_lo
	v_add_co_u32 v115, vcc_lo, v44, v48
	v_ashrrev_i32_e32 v77, 31, v45
	v_mul_lo_u32 v74, s26, v74
	v_add_co_ci_u32_e64 v116, null, v47, v73, vcc_lo
	v_add_co_u32 v117, vcc_lo, v42, v48
	v_add_nc_u32_e32 v50, s26, v70
	v_add_nc_u32_e32 v79, 22, v11
	v_add_co_ci_u32_e64 v118, null, v43, v73, vcc_lo
	v_add_co_u32 v119, vcc_lo, v44, v45
	v_mul_lo_u32 v76, s26, v76
	v_ashrrev_i32_e32 v85, 31, v69
	v_add_co_ci_u32_e64 v120, null, v47, v77, vcc_lo
	v_add_co_u32 v121, vcc_lo, v42, v45
	v_add_nc_u32_e32 v75, s26, v50
	v_add_nc_u32_e32 v80, 21, v11
	v_add_co_ci_u32_e64 v122, null, v43, v77, vcc_lo
	v_add_co_u32 v123, vcc_lo, v44, v69
	v_mul_lo_u32 v79, s26, v79
	v_ashrrev_i32_e32 v86, 31, v74
	v_add_co_ci_u32_e64 v124, null, v47, v85, vcc_lo
	v_add_co_u32 v125, vcc_lo, v42, v69
	v_add_nc_u32_e32 v81, 20, v11
	v_add_co_ci_u32_e64 v85, null, v43, v85, vcc_lo
	v_add_co_u32 v126, vcc_lo, v44, v74
	v_add_nc_u32_e32 v78, s26, v75
	v_mul_lo_u32 v80, s26, v80
	v_ashrrev_i32_e32 v87, 31, v76
	v_add_co_ci_u32_e64 v127, null, v47, v86, vcc_lo
	v_add_co_u32 v128, vcc_lo, v42, v74
	v_add_nc_u32_e32 v83, 19, v11
	v_add_co_ci_u32_e64 v129, null, v43, v86, vcc_lo
	v_add_co_u32 v130, vcc_lo, v44, v76
	v_mul_lo_u32 v81, s26, v81
	v_ashrrev_i32_e32 v89, 31, v79
	v_add_nc_u32_e32 v82, s26, v78
	v_add_co_ci_u32_e64 v131, null, v47, v87, vcc_lo
	v_add_co_u32 v132, vcc_lo, v42, v76
	v_add_co_ci_u32_e64 v133, null, v43, v87, vcc_lo
	v_add_co_u32 v134, vcc_lo, v44, v79
	v_mul_lo_u32 v83, s26, v83
	v_ashrrev_i32_e32 v90, 31, v80
	v_add_co_ci_u32_e64 v135, null, v47, v89, vcc_lo
	v_add_co_u32 v136, vcc_lo, v42, v79
	v_add_nc_u32_e32 v84, s26, v82
	v_add_co_ci_u32_e64 v137, null, v43, v89, vcc_lo
	v_add_co_u32 v138, vcc_lo, v44, v80
	v_ashrrev_i32_e32 v91, 31, v81
	v_add_co_ci_u32_e64 v139, null, v47, v90, vcc_lo
	v_add_co_u32 v140, vcc_lo, v42, v80
	v_add_nc_u32_e32 v88, s26, v84
	v_add_co_ci_u32_e64 v141, null, v43, v90, vcc_lo
	v_add_co_u32 v142, vcc_lo, v44, v81
	v_ashrrev_i32_e32 v92, 31, v83
	v_add_co_ci_u32_e64 v143, null, v47, v91, vcc_lo
	v_add_co_u32 v144, vcc_lo, v42, v81
	v_add_co_ci_u32_e64 v145, null, v43, v91, vcc_lo
	v_add_co_u32 v146, vcc_lo, v44, v83
	v_ashrrev_i32_e32 v93, 31, v88
	v_add_co_ci_u32_e64 v147, null, v47, v92, vcc_lo
	v_add_co_u32 v148, vcc_lo, v42, v83
	;; [unrolled: 5-line block ×17, first 2 shown]
	v_add_co_ci_u32_e64 v209, null, v43, v107, vcc_lo
	v_add_co_u32 v210, vcc_lo, v44, v40
	v_add_co_ci_u32_e64 v211, null, v47, v108, vcc_lo
	v_add_co_u32 v212, vcc_lo, v42, v40
	v_and_b32_e32 v40, 30, v32
	v_ashrrev_i32_e32 v109, 31, v38
	v_ashrrev_i32_e32 v111, 31, v39
	v_add_co_ci_u32_e64 v213, null, v43, v108, vcc_lo
	v_add_co_u32 v54, vcc_lo, v42, v38
	v_add_nc_u32_e32 v40, 2, v40
	v_xor_b32_e32 v41, 1, v32
	v_add_co_ci_u32_e64 v55, null, v43, v109, vcc_lo
	v_add_co_u32 v214, vcc_lo, v42, v39
	v_add_co_ci_u32_e64 v215, null, v43, v111, vcc_lo
	v_add_co_u32 v216, vcc_lo, v44, v39
	v_add_co_ci_u32_e64 v217, null, v47, v111, vcc_lo
	v_cmp_lt_i32_e32 vcc_lo, v41, v40
	v_xor_b32_e32 v40, 4, v32
	v_mul_lo_u32 v12, v12, s18
	v_xor_b32_e32 v42, 16, v32
	s_mul_i32 s38, s24, s33
	v_cndmask_b32_e32 v39, v32, v41, vcc_lo
	v_add_co_u32 v218, vcc_lo, v44, v38
	v_add_co_ci_u32_e64 v219, null, v47, v109, vcc_lo
	v_lshlrev_b32_e32 v38, 2, v39
	v_xor_b32_e32 v39, 2, v32
	v_xor_b32_e32 v41, 8, v32
	v_add_nc_u32_e32 v48, s18, v12
	s_mov_b32 s9, s3
	v_add_co_u32 v10, s3, s38, v10
	v_cmp_gt_i32_e32 vcc_lo, 32, v39
	v_ashrrev_i32_e32 v49, 31, v48
	v_add_co_ci_u32_e64 v50, null, s35, 0, s3
	s_lshl_b64 s[14:15], s[8:9], 1
	v_cndmask_b32_e32 v39, v32, v39, vcc_lo
	v_cmp_gt_i32_e32 vcc_lo, 32, v40
	s_add_u32 s3, s12, s41
	s_addc_u32 s9, s13, s42
	v_lshlrev_b32_e32 v43, 1, v11
	s_add_u32 s39, s43, s38
	v_cndmask_b32_e32 v40, v32, v40, vcc_lo
	v_cmp_gt_i32_e32 vcc_lo, 32, v41
	v_lshlrev_b32_e32 v39, 2, v39
	s_mul_i32 s24, s26, s2
	s_mul_i32 s25, s18, s2
	v_lshlrev_b32_e32 v40, 2, v40
	v_cndmask_b32_e32 v41, v32, v41, vcc_lo
	v_cmp_gt_i32_e32 vcc_lo, 32, v42
	v_lshlrev_b32_e32 v41, 2, v41
	v_cndmask_b32_e32 v42, v32, v42, vcc_lo
	v_add_co_u32 v44, vcc_lo, v10, v48
	v_add_co_ci_u32_e64 v45, null, v50, v49, vcc_lo
	v_lshlrev_b32_e32 v42, 2, v42
	v_add_co_u32 v44, vcc_lo, s43, v44
	v_add_co_ci_u32_e64 v45, null, s40, v45, vcc_lo
	v_add_co_u32 v46, vcc_lo, s3, v13
	v_add_co_ci_u32_e64 v47, null, s9, v37, vcc_lo
	;; [unrolled: 2-line block ×3, first 2 shown]
	v_ashrrev_i32_e32 v13, 31, v12
	v_add_co_u32 v10, vcc_lo, v10, v12
	s_addc_u32 s40, s40, s35
	v_mov_b32_e32 v37, 0
	v_add_co_ci_u32_e64 v11, null, v11, v13, vcc_lo
	v_add_co_u32 v48, vcc_lo, s39, v48
	v_add_co_ci_u32_e64 v49, null, s40, v49, vcc_lo
	v_add_co_u32 v50, vcc_lo, s10, v10
	;; [unrolled: 2-line block ×3, first 2 shown]
	s_add_u32 s3, s38, s36
	v_add_co_ci_u32_e64 v53, null, s9, v53, vcc_lo
	s_addc_u32 s9, s35, s27
	s_add_u32 s3, s10, s3
	s_addc_u32 s9, s11, s9
	v_add_co_u32 v10, vcc_lo, s3, v12
	v_add_co_ci_u32_e64 v11, null, s9, v13, vcc_lo
	v_add_co_u32 v54, vcc_lo, s12, v54
	v_add_co_ci_u32_e64 v55, null, s13, v55, vcc_lo
	;; [unrolled: 2-line block ×64, first 2 shown]
	v_mov_b32_e32 v184, 0xfeffffff
	v_mov_b32_e32 v182, 0
	;; [unrolled: 1-line block ×4, first 2 shown]
	s_mul_i32 s3, s8, s18
	s_mul_i32 s9, s8, s26
	s_mov_b32 s10, 0xbbbac73d
.LBB18_11:                              ; =>This Inner Loop Header: Depth=1
	v_add_co_u32 v10, vcc_lo, v56, s25
	v_add_co_ci_u32_e64 v11, null, 0, v57, vcc_lo
	v_add_co_u32 v12, vcc_lo, v50, s25
	v_add_co_ci_u32_e64 v13, null, 0, v51, vcc_lo
	v_mov_b32_e32 v186, 0
	v_mov_b32_e32 v189, 0
	;; [unrolled: 1-line block ×3, first 2 shown]
	s_clause 0x1
	global_load_dword v181, v[12:13], off offset:2
	global_load_dword v187, v[12:13], off offset:10
	s_waitcnt vmcnt(1)
	v_and_b32_e32 v185, 0xf0f0f0f, v181
	s_waitcnt vmcnt(0)
	v_and_b32_e32 v188, 0xf0f0f0f, v187
	v_lshrrev_b32_e32 v181, 4, v181
	v_dot4c_i32_i8 v186, v185, v14
	global_load_ushort v185, v[10:11], off offset:-54
	v_dot4c_i32_i8 v189, v188, v15
	v_and_b32_e32 v181, 0xf0f0f0f, v181
	v_cvt_f32_i32_e32 v186, v186
	v_cvt_f32_i32_e32 v188, v189
	v_mov_b32_e32 v189, 0
	v_fma_f32 v186, v2, v186, -v3
	v_fma_f32 v188, v2, v188, -v3
	s_waitcnt vmcnt(0)
	v_fma_mix_f32 v186, v186, v185, 0 op_sel_hi:[0,1,0]
	v_fma_mix_f32 v186, v188, v185, v186 op_sel_hi:[0,1,0]
	v_mov_b32_e32 v188, 0
	v_dot4c_i32_i8 v188, v181, v16
	v_cvt_f32_i32_e32 v181, v188
	v_fma_f32 v181, v2, v181, -v3
	v_fma_mix_f32 v181, v181, v185, v186 op_sel_hi:[0,1,0]
	v_lshrrev_b32_e32 v186, 4, v187
	v_mov_b32_e32 v187, 0
	v_and_b32_e32 v186, 0xf0f0f0f, v186
	v_dot4c_i32_i8 v187, v186, v17
	v_cvt_f32_i32_e32 v186, v187
	v_mov_b32_e32 v187, 0
	v_fma_f32 v186, v2, v186, -v3
	v_fma_mix_f32 v181, v186, v185, v181 op_sel_hi:[0,1,0]
	global_load_dword v185, v[12:13], off offset:20
	s_waitcnt vmcnt(0)
	v_and_b32_e32 v186, 0xf0f0f0f, v185
	v_lshrrev_b32_e32 v185, 4, v185
	v_dot4c_i32_i8 v187, v186, v18
	global_load_ushort v186, v[10:11], off offset:-36
	v_and_b32_e32 v185, 0xf0f0f0f, v185
	v_cvt_f32_i32_e32 v187, v187
	v_fma_f32 v187, v4, v187, -v5
	s_waitcnt vmcnt(0)
	v_fma_mix_f32 v181, v187, v186, v181 op_sel_hi:[0,1,0]
	global_load_dword v187, v[12:13], off offset:28
	s_waitcnt vmcnt(0)
	v_and_b32_e32 v188, 0xf0f0f0f, v187
	v_dot4c_i32_i8 v189, v188, v19
	v_cvt_f32_i32_e32 v188, v189
	v_fma_f32 v188, v4, v188, -v5
	v_fma_mix_f32 v181, v188, v186, v181 op_sel_hi:[0,1,0]
	v_mov_b32_e32 v188, 0
	v_dot4c_i32_i8 v188, v185, v20
	v_lshrrev_b32_e32 v185, 4, v187
	v_mov_b32_e32 v187, 0
	v_and_b32_e32 v185, 0xf0f0f0f, v185
	v_dot4c_i32_i8 v187, v185, v21
	v_cvt_f32_i32_e32 v185, v188
	v_cvt_f32_i32_e32 v187, v187
	v_fma_f32 v185, v4, v185, -v5
	v_fma_f32 v187, v4, v187, -v5
	v_fma_mix_f32 v181, v185, v186, v181 op_sel_hi:[0,1,0]
	global_load_dword v185, v[12:13], off offset:38
	v_fma_mix_f32 v181, v187, v186, v181 op_sel_hi:[0,1,0]
	v_mov_b32_e32 v187, 0
	s_waitcnt vmcnt(0)
	v_and_b32_e32 v186, 0xf0f0f0f, v185
	v_lshrrev_b32_e32 v185, 4, v185
	v_dot4c_i32_i8 v187, v186, v22
	global_load_ushort v186, v[10:11], off offset:-18
	global_load_dword v188, v[12:13], off offset:46
	v_and_b32_e32 v185, 0xf0f0f0f, v185
	v_cvt_f32_i32_e32 v187, v187
	v_fma_f32 v187, v6, v187, -v7
	s_waitcnt vmcnt(1)
	v_fma_mix_f32 v181, v187, v186, v181 op_sel_hi:[0,1,0]
	s_waitcnt vmcnt(0)
	v_and_b32_e32 v189, 0xf0f0f0f, v188
	v_mov_b32_e32 v187, 0
	v_dot4c_i32_i8 v190, v189, v23
	v_dot4c_i32_i8 v187, v185, v24
	v_lshrrev_b32_e32 v185, 4, v188
	v_mov_b32_e32 v188, 0
	v_cvt_f32_i32_e32 v189, v190
	v_and_b32_e32 v185, 0xf0f0f0f, v185
	v_fma_f32 v189, v6, v189, -v7
	v_dot4c_i32_i8 v188, v185, v25
	v_cvt_f32_i32_e32 v185, v187
	v_fma_mix_f32 v181, v189, v186, v181 op_sel_hi:[0,1,0]
	v_cvt_f32_i32_e32 v187, v188
	v_fma_f32 v185, v6, v185, -v7
	v_fma_f32 v187, v6, v187, -v7
	v_fma_mix_f32 v181, v185, v186, v181 op_sel_hi:[0,1,0]
	global_load_dword v185, v[12:13], off offset:56
	global_load_ushort v10, v[10:11], off
	global_load_dword v11, v[12:13], off offset:64
	v_mov_b32_e32 v13, 0
	v_fma_mix_f32 v181, v187, v186, v181 op_sel_hi:[0,1,0]
	v_mov_b32_e32 v187, 0
	s_waitcnt vmcnt(2)
	v_and_b32_e32 v186, 0xf0f0f0f, v185
	s_waitcnt vmcnt(0)
	v_and_b32_e32 v12, 0xf0f0f0f, v11
	v_lshrrev_b32_e32 v11, 4, v11
	v_dot4c_i32_i8 v187, v186, v26
	v_dot4c_i32_i8 v13, v12, v27
	v_and_b32_e32 v11, 0xf0f0f0f, v11
	v_cvt_f32_i32_e32 v12, v187
	v_cvt_f32_i32_e32 v13, v13
	v_fma_f32 v12, v8, v12, -v9
	v_fma_f32 v13, v8, v13, -v9
	v_fma_mix_f32 v12, v12, v10, v181 op_sel_hi:[0,1,0]
	v_mov_b32_e32 v181, 0
	v_fma_mix_f32 v12, v13, v10, v12 op_sel_hi:[0,1,0]
	v_lshrrev_b32_e32 v13, 4, v185
	v_and_b32_e32 v13, 0xf0f0f0f, v13
	v_dot4c_i32_i8 v181, v13, v28
	v_mov_b32_e32 v13, 0
	v_dot4c_i32_i8 v13, v11, v29
	v_cvt_f32_i32_e32 v11, v181
	v_cvt_f32_i32_e32 v13, v13
	v_fma_f32 v11, v8, v11, -v9
	v_fma_f32 v13, v8, v13, -v9
	v_fma_mix_f32 v11, v11, v10, v12 op_sel_hi:[0,1,0]
	v_fma_mix_f32 v10, v13, v10, v11 op_sel_hi:[0,1,0]
	ds_bpermute_b32 v11, v38, v10
	s_waitcnt lgkmcnt(0)
	v_add_f32_e32 v10, v10, v11
                                        ; implicit-def: $vgpr11
	v_cmp_ngt_f32_e64 s11, 0x3f200000, |v10|
	s_and_saveexec_b32 s12, s11
	s_xor_b32 s11, exec_lo, s12
	s_cbranch_execz .LBB18_13
; %bb.12:                               ;   in Loop: Header=BB18_11 Depth=1
	v_add_f32_e64 v11, |v10|, |v10|
	v_mul_f32_e32 v12, 0x3fb8aa3b, v11
	v_cmp_ngt_f32_e32 vcc_lo, 0xc2ce8ed0, v11
	v_rndne_f32_e32 v13, v12
	v_fma_f32 v181, 0x3fb8aa3b, v11, -v12
	v_sub_f32_e32 v12, v12, v13
	v_fmac_f32_e32 v181, 0x32a5705f, v11
	v_cvt_i32_f32_e32 v13, v13
	v_add_f32_e32 v12, v12, v181
	v_exp_f32_e32 v12, v12
	v_ldexp_f32 v12, v12, v13
	v_cndmask_b32_e32 v12, 0, v12, vcc_lo
	v_cmp_nlt_f32_e32 vcc_lo, 0x42b17218, v11
	v_cndmask_b32_e32 v11, 0x7f800000, v12, vcc_lo
	v_add_f32_e32 v11, 1.0, v11
	v_rcp_f32_e32 v11, v11
	v_fma_f32 v11, v11, -2.0, 1.0
.LBB18_13:                              ;   in Loop: Header=BB18_11 Depth=1
	s_andn2_saveexec_b32 s11, s11
	s_cbranch_execz .LBB18_15
; %bb.14:                               ;   in Loop: Header=BB18_11 Depth=1
	v_mul_f32_e32 v11, v10, v10
	v_fmaak_f32 v12, s10, v11, 0x3ca908c9
	v_fmaak_f32 v12, v11, v12, 0xbd5c1c4e
	;; [unrolled: 1-line block ×4, first 2 shown]
	v_mul_f32_e64 v12, |v10|, v12
	v_fma_f32 v11, v11, v12, |v10|
.LBB18_15:                              ;   in Loop: Header=BB18_11 Depth=1
	s_or_b32 exec_lo, exec_lo, s11
	v_bfi_b32 v10, 0x7fffffff, v11, v10
	s_andn2_b32 vcc_lo, exec_lo, s19
	v_mul_f32_e32 v10, s37, v10
	s_cbranch_vccnz .LBB18_17
; %bb.16:                               ;   in Loop: Header=BB18_11 Depth=1
	global_load_ushort v11, v[30:31], off offset:-2
	s_waitcnt vmcnt(0)
	v_fma_mix_f32 v10, v33, v11, v10 op_sel_hi:[0,1,0]
.LBB18_17:                              ;   in Loop: Header=BB18_11 Depth=1
	v_add_co_u32 v11, vcc_lo, v44, s25
	v_add_co_ci_u32_e64 v12, null, 0, v45, vcc_lo
	v_add_co_u32 v185, vcc_lo, v48, s25
	v_add_co_ci_u32_e64 v186, null, 0, v49, vcc_lo
	s_clause 0x5
	global_load_dword v13, v[11:12], off offset:2
	global_load_dword v181, v[11:12], off offset:10
	;; [unrolled: 1-line block ×6, first 2 shown]
	s_clause 0x1
	global_load_ushort v191, v[185:186], off
	global_load_ushort v192, v[185:186], off offset:18
	s_clause 0x1
	global_load_dword v193, v[11:12], off offset:56
	global_load_dword v11, v[11:12], off offset:64
	s_clause 0x1
	global_load_ushort v12, v[185:186], off offset:36
	global_load_ushort v185, v[185:186], off offset:54
	v_mov_b32_e32 v186, 0
	v_mov_b32_e32 v194, 0
	;; [unrolled: 1-line block ×16, first 2 shown]
	s_waitcnt vmcnt(11)
	v_and_b32_e32 v209, 0xf0f0f0f, v13
	s_waitcnt vmcnt(10)
	v_and_b32_e32 v210, 0xf0f0f0f, v181
	v_lshrrev_b32_e32 v13, 4, v13
	v_lshrrev_b32_e32 v181, 4, v181
	s_waitcnt vmcnt(9)
	v_and_b32_e32 v211, 0xf0f0f0f, v187
	v_dot4c_i32_i8 v186, v209, v14
	v_dot4c_i32_i8 v194, v210, v15
	v_and_b32_e32 v13, 0xf0f0f0f, v13
	v_and_b32_e32 v181, 0xf0f0f0f, v181
	s_waitcnt vmcnt(8)
	v_and_b32_e32 v212, 0xf0f0f0f, v188
	v_cvt_f32_i32_e32 v186, v186
	v_cvt_f32_i32_e32 v194, v194
	v_dot4c_i32_i8 v195, v13, v16
	v_dot4c_i32_i8 v196, v181, v17
	v_lshrrev_b32_e32 v187, 4, v187
	v_fma_f32 v13, v2, v186, -v3
	v_fma_f32 v181, v2, v194, -v3
	v_cvt_f32_i32_e32 v194, v195
	v_dot4c_i32_i8 v197, v211, v18
	v_cvt_f32_i32_e32 v195, v196
	s_waitcnt vmcnt(5)
	v_fma_mix_f32 v13, v13, v191, 0 op_sel_hi:[0,1,0]
	v_lshrrev_b32_e32 v188, 4, v188
	v_fma_f32 v194, v2, v194, -v3
	v_dot4c_i32_i8 v198, v212, v19
	v_fma_f32 v195, v2, v195, -v3
	v_fma_mix_f32 v13, v181, v191, v13 op_sel_hi:[0,1,0]
	v_and_b32_e32 v181, 0xf0f0f0f, v187
	v_cvt_f32_i32_e32 v187, v197
	v_and_b32_e32 v188, 0xf0f0f0f, v188
	v_and_b32_e32 v209, 0xf0f0f0f, v189
	v_fma_mix_f32 v13, v194, v191, v13 op_sel_hi:[0,1,0]
	v_cvt_f32_i32_e32 v194, v198
	v_dot4c_i32_i8 v199, v181, v20
	v_fma_f32 v181, v4, v187, -v5
	v_and_b32_e32 v186, 0xf0f0f0f, v190
	v_fma_mix_f32 v13, v195, v191, v13 op_sel_hi:[0,1,0]
	v_lshrrev_b32_e32 v187, 4, v190
	v_dot4c_i32_i8 v200, v188, v21
	v_fma_f32 v188, v4, v194, -v5
	v_cvt_f32_i32_e32 v190, v199
	s_waitcnt vmcnt(4)
	v_fma_mix_f32 v13, v181, v192, v13 op_sel_hi:[0,1,0]
	v_lshrrev_b32_e32 v189, 4, v189
	v_dot4c_i32_i8 v201, v209, v22
	v_cvt_f32_i32_e32 v191, v200
	v_fma_f32 v190, v4, v190, -v5
	v_fma_mix_f32 v13, v188, v192, v13 op_sel_hi:[0,1,0]
	v_dot4c_i32_i8 v202, v186, v23
	v_and_b32_e32 v186, 0xf0f0f0f, v189
	v_cvt_f32_i32_e32 v188, v201
	v_fma_f32 v189, v4, v191, -v5
	v_fma_mix_f32 v13, v190, v192, v13 op_sel_hi:[0,1,0]
	v_and_b32_e32 v187, 0xf0f0f0f, v187
	v_cvt_f32_i32_e32 v190, v202
	v_dot4c_i32_i8 v203, v186, v24
	v_fma_f32 v186, v6, v188, -v7
	v_fma_mix_f32 v13, v189, v192, v13 op_sel_hi:[0,1,0]
	s_waitcnt vmcnt(3)
	v_and_b32_e32 v181, 0xf0f0f0f, v193
	v_dot4c_i32_i8 v204, v187, v25
	v_fma_f32 v187, v6, v190, -v7
	v_cvt_f32_i32_e32 v189, v203
	s_waitcnt vmcnt(1)
	v_fma_mix_f32 v13, v186, v12, v13 op_sel_hi:[0,1,0]
	v_and_b32_e32 v188, 0xf0f0f0f, v11
	v_lshrrev_b32_e32 v186, 4, v193
	v_dot4c_i32_i8 v205, v181, v26
	v_cvt_f32_i32_e32 v181, v204
	v_fma_f32 v189, v6, v189, -v7
	v_fma_mix_f32 v13, v187, v12, v13 op_sel_hi:[0,1,0]
	v_lshrrev_b32_e32 v11, 4, v11
	v_dot4c_i32_i8 v206, v188, v27
	v_cvt_f32_i32_e32 v187, v205
	v_fma_f32 v181, v6, v181, -v7
	v_fma_mix_f32 v13, v189, v12, v13 op_sel_hi:[0,1,0]
	v_and_b32_e32 v186, 0xf0f0f0f, v186
	v_and_b32_e32 v11, 0xf0f0f0f, v11
	v_cvt_f32_i32_e32 v188, v206
	v_fma_f32 v187, v8, v187, -v9
	v_fma_mix_f32 v12, v181, v12, v13 op_sel_hi:[0,1,0]
	v_dot4c_i32_i8 v207, v186, v28
	v_dot4c_i32_i8 v208, v11, v29
	v_fma_f32 v11, v8, v188, -v9
	s_waitcnt vmcnt(0)
	v_fma_mix_f32 v12, v187, v185, v12 op_sel_hi:[0,1,0]
	v_cvt_f32_i32_e32 v13, v207
	v_cvt_f32_i32_e32 v181, v208
	v_fma_mix_f32 v11, v11, v185, v12 op_sel_hi:[0,1,0]
	v_fma_f32 v12, v8, v13, -v9
	v_fma_f32 v13, v8, v181, -v9
	v_fma_mix_f32 v11, v12, v185, v11 op_sel_hi:[0,1,0]
	v_fma_mix_f32 v11, v13, v185, v11 op_sel_hi:[0,1,0]
	ds_bpermute_b32 v12, v38, v11
	s_waitcnt lgkmcnt(0)
	v_add_f32_e32 v11, v11, v12
                                        ; implicit-def: $vgpr12
	v_cmp_ngt_f32_e64 s11, 0x3f200000, |v11|
	s_and_saveexec_b32 s12, s11
	s_xor_b32 s11, exec_lo, s12
	s_cbranch_execz .LBB18_19
; %bb.18:                               ;   in Loop: Header=BB18_11 Depth=1
	v_add_f32_e64 v12, |v11|, |v11|
	v_mul_f32_e32 v13, 0x3fb8aa3b, v12
	v_cmp_ngt_f32_e32 vcc_lo, 0xc2ce8ed0, v12
	v_rndne_f32_e32 v181, v13
	v_fma_f32 v185, 0x3fb8aa3b, v12, -v13
	v_sub_f32_e32 v13, v13, v181
	v_fmac_f32_e32 v185, 0x32a5705f, v12
	v_cvt_i32_f32_e32 v181, v181
	v_add_f32_e32 v13, v13, v185
	v_exp_f32_e32 v13, v13
	v_ldexp_f32 v13, v13, v181
	v_cndmask_b32_e32 v13, 0, v13, vcc_lo
	v_cmp_nlt_f32_e32 vcc_lo, 0x42b17218, v12
	v_cndmask_b32_e32 v12, 0x7f800000, v13, vcc_lo
	v_add_f32_e32 v12, 1.0, v12
	v_rcp_f32_e32 v12, v12
	v_fma_f32 v12, v12, -2.0, 1.0
.LBB18_19:                              ;   in Loop: Header=BB18_11 Depth=1
	s_andn2_saveexec_b32 s11, s11
	s_cbranch_execz .LBB18_21
; %bb.20:                               ;   in Loop: Header=BB18_11 Depth=1
	v_mul_f32_e32 v12, v11, v11
	v_fmaak_f32 v13, s10, v12, 0x3ca908c9
	v_fmaak_f32 v13, v12, v13, 0xbd5c1c4e
	;; [unrolled: 1-line block ×4, first 2 shown]
	v_mul_f32_e64 v13, |v11|, v13
	v_fma_f32 v12, v12, v13, |v11|
.LBB18_21:                              ;   in Loop: Header=BB18_11 Depth=1
	s_or_b32 exec_lo, exec_lo, s11
	v_bfi_b32 v11, 0x7fffffff, v12, v11
	s_andn2_b32 vcc_lo, exec_lo, s19
	v_mul_f32_e32 v11, s37, v11
	s_cbranch_vccnz .LBB18_23
; %bb.22:                               ;   in Loop: Header=BB18_11 Depth=1
	global_load_ushort v12, v[30:31], off
	s_waitcnt vmcnt(0)
	v_fma_mix_f32 v11, v33, v12, v11 op_sel_hi:[0,1,0]
.LBB18_23:                              ;   in Loop: Header=BB18_11 Depth=1
	v_add_f32_e32 v12, 0x40051340, v10
	v_add_f32_e32 v13, 0x40051340, v11
	v_cndmask_b32_e64 v10, v11, v10, s1
	s_add_i32 s2, s2, s8
	s_cmp_ge_i32 s2, s34
	v_max3_f32 v12, v184, v12, v13
	ds_bpermute_b32 v13, v39, v12
	s_waitcnt lgkmcnt(0)
	v_max_f32_e32 v13, v13, v13
	v_max_f32_e32 v12, v12, v13
	ds_bpermute_b32 v13, v40, v12
	s_waitcnt lgkmcnt(0)
	v_max_f32_e32 v13, v13, v13
	v_max_f32_e32 v12, v12, v13
	;; [unrolled: 4-line block ×4, first 2 shown]
	v_sub_f32_e32 v10, v10, v181
	v_sub_f32_e32 v184, v184, v181
	v_mul_f32_e32 v11, 0x3fb8aa3b, v10
	v_cmp_ngt_f32_e32 vcc_lo, 0xc2ce8ed0, v10
	v_fma_f32 v12, 0x3fb8aa3b, v10, -v11
	v_rndne_f32_e32 v13, v11
	v_fmac_f32_e32 v12, 0x32a5705f, v10
	v_sub_f32_e32 v11, v11, v13
	v_add_f32_e32 v11, v11, v12
	v_cvt_i32_f32_e32 v12, v13
	v_exp_f32_e32 v11, v11
	v_ldexp_f32 v11, v11, v12
	v_cndmask_b32_e32 v11, 0, v11, vcc_lo
	v_cmp_nlt_f32_e32 vcc_lo, 0x42b17218, v10
	v_cndmask_b32_e32 v185, 0x7f800000, v11, vcc_lo
	v_cvt_f16_f32_e32 v10, v185
	ds_write_b16 v35, v10
	ds_read_b128 v[10:13], v43
	ds_read_b128 v[199:202], v43 offset:16
	s_waitcnt lgkmcnt(1)
	v_mul_u32_u24_sdwa v198, v10, v180 dst_sel:DWORD dst_unused:UNUSED_PAD src0_sel:WORD_0 src1_sel:DWORD
	v_mul_u32_u24_sdwa v196, v10, v180 dst_sel:DWORD dst_unused:UNUSED_PAD src0_sel:WORD_1 src1_sel:DWORD
	v_mul_u32_u24_sdwa v194, v11, v180 dst_sel:DWORD dst_unused:UNUSED_PAD src0_sel:WORD_0 src1_sel:DWORD
	v_mul_u32_u24_sdwa v192, v11, v180 dst_sel:DWORD dst_unused:UNUSED_PAD src0_sel:WORD_1 src1_sel:DWORD
	;; [unrolled: 2-line block ×4, first 2 shown]
	ds_read_b128 v[10:13], v43 offset:32
	ds_read_b128 v[211:214], v43 offset:48
	s_waitcnt lgkmcnt(2)
	v_mul_u32_u24_sdwa v188, v199, v180 dst_sel:DWORD dst_unused:UNUSED_PAD src0_sel:WORD_0 src1_sel:DWORD
	v_mul_u32_u24_sdwa v190, v199, v180 dst_sel:DWORD dst_unused:UNUSED_PAD src0_sel:WORD_1 src1_sel:DWORD
	v_mul_u32_u24_sdwa v193, v200, v180 dst_sel:DWORD dst_unused:UNUSED_PAD src0_sel:WORD_0 src1_sel:DWORD
	v_mul_u32_u24_sdwa v195, v200, v180 dst_sel:DWORD dst_unused:UNUSED_PAD src0_sel:WORD_1 src1_sel:DWORD
	v_mul_u32_u24_sdwa v197, v201, v180 dst_sel:DWORD dst_unused:UNUSED_PAD src0_sel:WORD_0 src1_sel:DWORD
	v_mul_u32_u24_sdwa v199, v201, v180 dst_sel:DWORD dst_unused:UNUSED_PAD src0_sel:WORD_1 src1_sel:DWORD
	v_mul_u32_u24_sdwa v200, v202, v180 dst_sel:DWORD dst_unused:UNUSED_PAD src0_sel:WORD_0 src1_sel:DWORD
	v_mul_u32_u24_sdwa v201, v202, v180 dst_sel:DWORD dst_unused:UNUSED_PAD src0_sel:WORD_1 src1_sel:DWORD
	s_waitcnt lgkmcnt(1)
	v_mul_u32_u24_sdwa v210, v10, v180 dst_sel:DWORD dst_unused:UNUSED_PAD src0_sel:WORD_0 src1_sel:DWORD
	v_mul_u32_u24_sdwa v208, v10, v180 dst_sel:DWORD dst_unused:UNUSED_PAD src0_sel:WORD_1 src1_sel:DWORD
	v_mul_u32_u24_sdwa v207, v11, v180 dst_sel:DWORD dst_unused:UNUSED_PAD src0_sel:WORD_0 src1_sel:DWORD
	v_mul_u32_u24_sdwa v205, v11, v180 dst_sel:DWORD dst_unused:UNUSED_PAD src0_sel:WORD_1 src1_sel:DWORD
	v_mul_u32_u24_sdwa v203, v12, v180 dst_sel:DWORD dst_unused:UNUSED_PAD src0_sel:WORD_0 src1_sel:DWORD
	v_mul_u32_u24_sdwa v202, v12, v180 dst_sel:DWORD dst_unused:UNUSED_PAD src0_sel:WORD_1 src1_sel:DWORD
	v_mul_u32_u24_sdwa v12, v13, v180 dst_sel:DWORD dst_unused:UNUSED_PAD src0_sel:WORD_0 src1_sel:DWORD
	v_mul_u32_u24_sdwa v11, v13, v180 dst_sel:DWORD dst_unused:UNUSED_PAD src0_sel:WORD_1 src1_sel:DWORD
	;; [unrolled: 9-line block ×3, first 2 shown]
	v_add_co_u32 v214, vcc_lo, v52, s24
	v_add_co_ci_u32_e64 v215, null, 0, v53, vcc_lo
	global_load_dword v216, v[214:215], off offset:2
	v_add_co_u32 v214, vcc_lo, v46, s24
	v_add_co_ci_u32_e64 v215, null, 0, v47, vcc_lo
	v_cmp_ngt_f32_e32 vcc_lo, 0xc2ce8ed0, v184
	global_load_ushort v214, v[214:215], off
	v_mul_f32_e32 v215, 0x3fb8aa3b, v184
	v_fma_f32 v217, 0x3fb8aa3b, v184, -v215
	v_rndne_f32_e32 v218, v215
	v_fmac_f32_e32 v217, 0x32a5705f, v184
	v_sub_f32_e32 v215, v215, v218
	v_add_f32_e32 v215, v215, v217
	v_cvt_i32_f32_e32 v217, v218
	v_exp_f32_e32 v215, v215
	v_ldexp_f32 v215, v215, v217
	v_cndmask_b32_e32 v215, 0, v215, vcc_lo
	v_cmp_nlt_f32_e32 vcc_lo, 0x42b17218, v184
	v_cndmask_b32_e32 v184, 0x7f800000, v215, vcc_lo
	v_fma_f32 v37, v37, v184, v185
	v_cvt_f16_f32_e32 v184, v184
	v_mul_u32_u24_sdwa v184, v184, v180 dst_sel:DWORD dst_unused:UNUSED_PAD src0_sel:WORD_0 src1_sel:DWORD
	v_pk_mul_f16 v183, v183, v184
	v_pk_mul_f16 v182, v182, v184
	s_waitcnt vmcnt(1)
	v_pk_lshrrev_b16 v184, 8, v216 op_sel:[1,0] op_sel_hi:[0,0]
	v_lshrrev_b32_e32 v185, 16, v184
	v_cvt_f16_i16_sdwa v184, sext(v184) dst_sel:DWORD dst_unused:UNUSED_PAD src0_sel:BYTE_0
	s_waitcnt vmcnt(0)
	v_mul_u32_u24_e32 v214, 0x10001, v214
	v_cvt_f16_i16_sdwa v185, sext(v185) dst_sel:DWORD dst_unused:UNUSED_PAD src0_sel:BYTE_0
	v_pack_b32_f16 v184, v184, v185
	v_pk_lshrrev_b16 v185, 8, v216 op_sel:[1,1] op_sel_hi:[0,1]
	v_pk_mul_f16 v184, v184, v214
	v_lshrrev_b32_e32 v215, 16, v185
	v_cvt_f16_i16_sdwa v185, sext(v185) dst_sel:DWORD dst_unused:UNUSED_PAD src0_sel:BYTE_0
	v_pk_fma_f16 v184, v184, v198, v183
	v_cvt_f16_i16_sdwa v215, sext(v215) dst_sel:DWORD dst_unused:UNUSED_PAD src0_sel:BYTE_0
	v_pack_b32_f16 v185, v185, v215
	v_pk_mul_f16 v185, v185, v214
	v_pk_fma_f16 v185, v185, v198, v182
	v_add_co_u32 v182, vcc_lo, v178, s24
	v_add_co_ci_u32_e64 v183, null, 0, v179, vcc_lo
	global_load_dword v198, v[182:183], off offset:2
	v_add_co_u32 v182, vcc_lo, v54, s24
	v_add_co_ci_u32_e64 v183, null, 0, v55, vcc_lo
	global_load_ushort v182, v[182:183], off
	s_waitcnt vmcnt(1)
	v_pk_lshrrev_b16 v183, 8, v198 op_sel:[1,0] op_sel_hi:[0,0]
	v_pk_lshrrev_b16 v198, 8, v198 op_sel:[1,1] op_sel_hi:[0,1]
	v_lshrrev_b32_e32 v214, 16, v183
	v_cvt_f16_i16_sdwa v183, sext(v183) dst_sel:DWORD dst_unused:UNUSED_PAD src0_sel:BYTE_0
	s_waitcnt vmcnt(0)
	v_mul_u32_u24_e32 v182, 0x10001, v182
	v_cvt_f16_i16_sdwa v214, sext(v214) dst_sel:DWORD dst_unused:UNUSED_PAD src0_sel:BYTE_0
	v_pack_b32_f16 v183, v183, v214
	v_lshrrev_b32_e32 v214, 16, v198
	v_cvt_f16_i16_sdwa v198, sext(v198) dst_sel:DWORD dst_unused:UNUSED_PAD src0_sel:BYTE_0
	v_pk_mul_f16 v183, v183, v182
	v_cvt_f16_i16_sdwa v214, sext(v214) dst_sel:DWORD dst_unused:UNUSED_PAD src0_sel:BYTE_0
	v_pk_fma_f16 v184, v183, v196, v184
	v_pack_b32_f16 v198, v198, v214
	v_pk_mul_f16 v182, v198, v182
	v_pk_fma_f16 v185, v182, v196, v185
	v_add_co_u32 v182, vcc_lo, v174, s24
	v_add_co_ci_u32_e64 v183, null, 0, v175, vcc_lo
	global_load_dword v196, v[182:183], off offset:2
	v_add_co_u32 v182, vcc_lo, v176, s24
	v_add_co_ci_u32_e64 v183, null, 0, v177, vcc_lo
	global_load_ushort v182, v[182:183], off
	s_waitcnt vmcnt(1)
	v_pk_lshrrev_b16 v183, 8, v196 op_sel:[1,0] op_sel_hi:[0,0]
	v_pk_lshrrev_b16 v196, 8, v196 op_sel:[1,1] op_sel_hi:[0,1]
	v_lshrrev_b32_e32 v198, 16, v183
	v_cvt_f16_i16_sdwa v183, sext(v183) dst_sel:DWORD dst_unused:UNUSED_PAD src0_sel:BYTE_0
	s_waitcnt vmcnt(0)
	v_mul_u32_u24_e32 v182, 0x10001, v182
	v_cvt_f16_i16_sdwa v198, sext(v198) dst_sel:DWORD dst_unused:UNUSED_PAD src0_sel:BYTE_0
	v_pack_b32_f16 v183, v183, v198
	v_lshrrev_b32_e32 v198, 16, v196
	v_cvt_f16_i16_sdwa v196, sext(v196) dst_sel:DWORD dst_unused:UNUSED_PAD src0_sel:BYTE_0
	v_pk_mul_f16 v183, v183, v182
	v_cvt_f16_i16_sdwa v198, sext(v198) dst_sel:DWORD dst_unused:UNUSED_PAD src0_sel:BYTE_0
	v_pk_fma_f16 v184, v183, v194, v184
	;; [unrolled: 23-line block ×24, first 2 shown]
	v_pack_b32_f16 v184, v184, v185
	v_pk_mul_f16 v11, v184, v11
	v_pk_fma_f16 v13, v11, v13, v182
	v_add_co_u32 v11, vcc_lo, v82, s24
	v_add_co_ci_u32_e64 v12, null, 0, v83, vcc_lo
	global_load_dword v182, v[11:12], off offset:2
	v_add_co_u32 v11, vcc_lo, v84, s24
	v_add_co_ci_u32_e64 v12, null, 0, v85, vcc_lo
	global_load_ushort v11, v[11:12], off
	s_waitcnt vmcnt(1)
	v_pk_lshrrev_b16 v12, 8, v182 op_sel:[1,0] op_sel_hi:[0,0]
	v_pk_lshrrev_b16 v182, 8, v182 op_sel:[1,1] op_sel_hi:[0,1]
	v_lshrrev_b32_e32 v184, 16, v12
	v_cvt_f16_i16_sdwa v12, sext(v12) dst_sel:DWORD dst_unused:UNUSED_PAD src0_sel:BYTE_0
	s_waitcnt vmcnt(0)
	v_mul_u32_u24_e32 v11, 0x10001, v11
	v_cvt_f16_i16_sdwa v184, sext(v184) dst_sel:DWORD dst_unused:UNUSED_PAD src0_sel:BYTE_0
	v_pack_b32_f16 v12, v12, v184
	v_lshrrev_b32_e32 v184, 16, v182
	v_cvt_f16_i16_sdwa v182, sext(v182) dst_sel:DWORD dst_unused:UNUSED_PAD src0_sel:BYTE_0
	v_pk_mul_f16 v12, v12, v11
	v_cvt_f16_i16_sdwa v184, sext(v184) dst_sel:DWORD dst_unused:UNUSED_PAD src0_sel:BYTE_0
	v_pack_b32_f16 v182, v182, v184
	v_pk_mul_f16 v11, v182, v11
	v_pk_fma_f16 v182, v12, v204, v183
	v_pk_fma_f16 v13, v11, v204, v13
	v_add_co_u32 v11, vcc_lo, v78, s24
	v_add_co_ci_u32_e64 v12, null, 0, v79, vcc_lo
	global_load_dword v183, v[11:12], off offset:2
	v_add_co_u32 v11, vcc_lo, v80, s24
	v_add_co_ci_u32_e64 v12, null, 0, v81, vcc_lo
	global_load_ushort v11, v[11:12], off
	s_waitcnt vmcnt(1)
	v_pk_lshrrev_b16 v12, 8, v183 op_sel:[1,0] op_sel_hi:[0,0]
	v_pk_lshrrev_b16 v183, 8, v183 op_sel:[1,1] op_sel_hi:[0,1]
	v_lshrrev_b32_e32 v184, 16, v12
	v_cvt_f16_i16_sdwa v12, sext(v12) dst_sel:DWORD dst_unused:UNUSED_PAD src0_sel:BYTE_0
	s_waitcnt vmcnt(0)
	v_mul_u32_u24_e32 v11, 0x10001, v11
	v_cvt_f16_i16_sdwa v184, sext(v184) dst_sel:DWORD dst_unused:UNUSED_PAD src0_sel:BYTE_0
	v_pack_b32_f16 v12, v12, v184
	v_lshrrev_b32_e32 v184, 16, v183
	v_cvt_f16_i16_sdwa v183, sext(v183) dst_sel:DWORD dst_unused:UNUSED_PAD src0_sel:BYTE_0
	v_pk_mul_f16 v12, v12, v11
	v_cvt_f16_i16_sdwa v184, sext(v184) dst_sel:DWORD dst_unused:UNUSED_PAD src0_sel:BYTE_0
	v_pk_fma_f16 v182, v12, v206, v182
	v_pack_b32_f16 v183, v183, v184
	v_pk_mul_f16 v11, v183, v11
	v_pk_fma_f16 v13, v11, v206, v13
	v_add_co_u32 v11, vcc_lo, v74, s24
	v_add_co_ci_u32_e64 v12, null, 0, v75, vcc_lo
	global_load_dword v183, v[11:12], off offset:2
	v_add_co_u32 v11, vcc_lo, v76, s24
	v_add_co_ci_u32_e64 v12, null, 0, v77, vcc_lo
	global_load_ushort v11, v[11:12], off
	s_waitcnt vmcnt(1)
	v_pk_lshrrev_b16 v12, 8, v183 op_sel:[1,0] op_sel_hi:[0,0]
	v_pk_lshrrev_b16 v183, 8, v183 op_sel:[1,1] op_sel_hi:[0,1]
	v_lshrrev_b32_e32 v184, 16, v12
	v_cvt_f16_i16_sdwa v12, sext(v12) dst_sel:DWORD dst_unused:UNUSED_PAD src0_sel:BYTE_0
	s_waitcnt vmcnt(0)
	v_mul_u32_u24_e32 v11, 0x10001, v11
	v_cvt_f16_i16_sdwa v184, sext(v184) dst_sel:DWORD dst_unused:UNUSED_PAD src0_sel:BYTE_0
	v_pack_b32_f16 v12, v12, v184
	v_lshrrev_b32_e32 v184, 16, v183
	v_cvt_f16_i16_sdwa v183, sext(v183) dst_sel:DWORD dst_unused:UNUSED_PAD src0_sel:BYTE_0
	v_pk_mul_f16 v12, v12, v11
	v_cvt_f16_i16_sdwa v184, sext(v184) dst_sel:DWORD dst_unused:UNUSED_PAD src0_sel:BYTE_0
	v_pk_fma_f16 v182, v12, v209, v182
	v_pack_b32_f16 v183, v183, v184
	v_pk_mul_f16 v11, v183, v11
	;; [unrolled: 23-line block ×5, first 2 shown]
	v_pk_fma_f16 v13, v11, v213, v13
	v_add_co_u32 v11, vcc_lo, v58, s24
	v_add_co_ci_u32_e64 v12, null, 0, v59, vcc_lo
	global_load_dword v183, v[11:12], off offset:2
	v_add_co_u32 v11, vcc_lo, v60, s24
	v_add_co_ci_u32_e64 v12, null, 0, v61, vcc_lo
	v_add_co_u32 v44, vcc_lo, v44, s3
	v_add_co_ci_u32_e64 v45, null, 0, v45, vcc_lo
	global_load_ushort v11, v[11:12], off
	v_add_co_u32 v30, vcc_lo, v30, s14
	v_add_co_ci_u32_e64 v31, null, s15, v31, vcc_lo
	v_add_co_u32 v46, vcc_lo, v46, s9
	v_add_co_ci_u32_e64 v47, null, 0, v47, vcc_lo
	;; [unrolled: 2-line block ×68, first 2 shown]
	s_waitcnt vmcnt(1)
	v_pk_lshrrev_b16 v12, 8, v183 op_sel:[1,0] op_sel_hi:[0,0]
	v_pk_lshrrev_b16 v183, 8, v183 op_sel:[1,1] op_sel_hi:[0,1]
	v_lshrrev_b32_e32 v184, 16, v12
	v_cvt_f16_i16_sdwa v12, sext(v12) dst_sel:DWORD dst_unused:UNUSED_PAD src0_sel:BYTE_0
	s_waitcnt vmcnt(0)
	v_mul_u32_u24_e32 v11, 0x10001, v11
	v_cvt_f16_i16_sdwa v184, sext(v184) dst_sel:DWORD dst_unused:UNUSED_PAD src0_sel:BYTE_0
	v_pack_b32_f16 v12, v12, v184
	v_lshrrev_b32_e32 v184, 16, v183
	v_cvt_f16_i16_sdwa v183, sext(v183) dst_sel:DWORD dst_unused:UNUSED_PAD src0_sel:BYTE_0
	v_pk_mul_f16 v12, v12, v11
	v_cvt_f16_i16_sdwa v184, sext(v184) dst_sel:DWORD dst_unused:UNUSED_PAD src0_sel:BYTE_0
	v_pack_b32_f16 v183, v183, v184
	v_pk_mul_f16 v11, v183, v11
	v_pk_fma_f16 v183, v12, v10, v182
	v_pk_fma_f16 v182, v11, v10, v13
	s_cbranch_scc1 .LBB18_26
; %bb.24:                               ;   in Loop: Header=BB18_11 Depth=1
	v_mov_b32_e32 v184, v181
	s_branch .LBB18_11
.LBB18_25:
	v_mov_b32_e32 v183, 0
	v_mov_b32_e32 v181, 0xfeffffff
	;; [unrolled: 1-line block ×3, first 2 shown]
.LBB18_26:
	v_or_b32_e32 v2, s7, v1
	s_cmp_lg_u64 s[16:17], 0
	s_cselect_b32 s1, -1, 0
	v_cmp_eq_u32_e32 vcc_lo, 0, v2
	s_and_b32 s2, vcc_lo, s1
	s_and_saveexec_b32 s1, s2
	s_cbranch_execz .LBB18_28
; %bb.27:
	s_lshl_b64 s[2:3], s[30:31], 2
	v_max_f32_e32 v2, v181, v181
	s_add_u32 s2, s16, s2
	s_addc_u32 s3, s17, s3
	s_load_dword s2, s[2:3], 0x0
	s_waitcnt lgkmcnt(0)
	v_max_f32_e64 v3, s2, s2
	v_max_f32_e32 v2, v2, v3
	v_sub_f32_e32 v3, v181, v2
	v_sub_f32_e32 v4, s2, v2
	v_mov_b32_e32 v181, v2
	v_mul_f32_e32 v5, 0x3fb8aa3b, v3
	v_mul_f32_e32 v6, 0x3fb8aa3b, v4
	v_cmp_ngt_f32_e32 vcc_lo, 0xc2ce8ed0, v3
	v_fma_f32 v7, 0x3fb8aa3b, v3, -v5
	v_rndne_f32_e32 v8, v5
	v_fma_f32 v9, 0x3fb8aa3b, v4, -v6
	v_rndne_f32_e32 v10, v6
	v_fmac_f32_e32 v7, 0x32a5705f, v3
	v_sub_f32_e32 v5, v5, v8
	v_fmac_f32_e32 v9, 0x32a5705f, v4
	v_sub_f32_e32 v6, v6, v10
	v_add_f32_e32 v5, v5, v7
	v_cvt_i32_f32_e32 v7, v8
	v_add_f32_e32 v6, v6, v9
	v_cvt_i32_f32_e32 v8, v10
	v_exp_f32_e32 v5, v5
	v_exp_f32_e32 v6, v6
	v_ldexp_f32 v5, v5, v7
	v_ldexp_f32 v6, v6, v8
	v_cndmask_b32_e32 v5, 0, v5, vcc_lo
	v_cmp_ngt_f32_e32 vcc_lo, 0xc2ce8ed0, v4
	v_cndmask_b32_e32 v6, 0, v6, vcc_lo
	v_cmp_nlt_f32_e32 vcc_lo, 0x42b17218, v3
	v_cndmask_b32_e32 v3, 0x7f800000, v5, vcc_lo
	v_cmp_nlt_f32_e32 vcc_lo, 0x42b17218, v4
	v_mov_b32_e32 v5, 0x10001
	v_cndmask_b32_e32 v4, 0x7f800000, v6, vcc_lo
	v_cmp_eq_u32_e32 vcc_lo, 0, v0
	v_cvt_f16_f32_e32 v6, v3
	v_cndmask_b32_e32 v4, 0, v4, vcc_lo
	v_mul_u32_u24_sdwa v5, v6, v5 dst_sel:DWORD dst_unused:UNUSED_PAD src0_sel:WORD_0 src1_sel:DWORD
	v_fmac_f32_e32 v4, v37, v3
	v_pk_mul_f16 v183, v183, v5
	v_pk_mul_f16 v182, v182, v5
	v_mov_b32_e32 v37, v4
.LBB18_28:
	s_or_b32 exec_lo, exec_lo, s1
	s_and_saveexec_b32 s1, s0
	s_cbranch_execz .LBB18_30
; %bb.29:
	v_mov_b32_e32 v2, 0xfeffffff
	v_mov_b32_e32 v3, 0
	v_add_nc_u32_e32 v4, 0x400, v36
	ds_write2_b32 v4, v2, v3 offset1:32
.LBB18_30:
	s_or_b32 exec_lo, exec_lo, s1
	v_cmp_eq_u32_e32 vcc_lo, 0, v0
	v_lshlrev_b32_e32 v4, 2, v1
	s_waitcnt lgkmcnt(0)
	s_barrier
	buffer_gl0_inv
	s_and_saveexec_b32 s0, vcc_lo
; %bb.31:
	ds_write_b32 v4, v181 offset:1024
; %bb.32:
	s_or_b32 exec_lo, exec_lo, s0
	s_waitcnt lgkmcnt(0)
	s_barrier
	buffer_gl0_inv
	ds_read_b32 v2, v36 offset:1024
	v_xor_b32_e32 v3, 16, v32
	v_xor_b32_e32 v6, 8, v32
	s_load_dword s1, s[4:5], 0xd4
	v_lshlrev_b32_e32 v0, 3, v0
	v_cmp_gt_i32_e64 s0, 32, v3
	v_lshl_add_u32 v0, v1, 8, v0
	v_cndmask_b32_e64 v3, v32, v3, s0
	v_cmp_gt_i32_e64 s0, 32, v6
	v_lshlrev_b32_e32 v3, 2, v3
	v_cndmask_b32_e64 v6, v32, v6, s0
	s_waitcnt lgkmcnt(0)
	ds_bpermute_b32 v5, v3, v2
	v_max_f32_e32 v2, v2, v2
	s_waitcnt lgkmcnt(0)
	v_max_f32_e32 v7, v5, v5
	v_lshlrev_b32_e32 v5, 2, v6
	v_max_f32_e32 v2, v2, v7
	v_xor_b32_e32 v7, 4, v32
	ds_bpermute_b32 v6, v5, v2
	v_cmp_gt_i32_e64 s0, 32, v7
	v_cndmask_b32_e64 v7, v32, v7, s0
	s_waitcnt lgkmcnt(0)
	v_max_f32_e32 v8, v6, v6
	v_lshlrev_b32_e32 v6, 2, v7
	v_max_f32_e32 v2, v2, v8
	v_xor_b32_e32 v8, 2, v32
	ds_bpermute_b32 v7, v6, v2
	v_cmp_gt_i32_e64 s0, 32, v8
	v_cndmask_b32_e64 v8, v32, v8, s0
	;; [unrolled: 8-line block ×3, first 2 shown]
	s_waitcnt lgkmcnt(0)
	v_max_f32_e32 v10, v8, v8
	v_lshlrev_b32_e32 v8, 2, v9
	v_max_f32_e32 v2, v2, v10
	ds_bpermute_b32 v9, v8, v2
	s_waitcnt lgkmcnt(0)
	v_max_f32_e32 v9, v9, v9
	v_max_f32_e32 v2, v2, v9
	v_sub_f32_e32 v9, v181, v2
	v_mul_f32_e32 v10, 0x3fb8aa3b, v9
	v_cmp_ngt_f32_e64 s0, 0xc2ce8ed0, v9
	v_fma_f32 v11, 0x3fb8aa3b, v9, -v10
	v_rndne_f32_e32 v12, v10
	v_fmamk_f32 v11, v9, 0x32a5705f, v11
	v_sub_f32_e32 v10, v10, v12
	v_add_f32_e32 v10, v10, v11
	v_cvt_i32_f32_e32 v11, v12
	v_mov_b32_e32 v12, 0x10001
	v_exp_f32_e32 v10, v10
	v_ldexp_f32 v10, v10, v11
	v_cndmask_b32_e64 v10, 0, v10, s0
	v_cmp_nlt_f32_e64 s0, 0x42b17218, v9
	v_cndmask_b32_e64 v11, 0x7f800000, v10, s0
	v_mul_f32_e32 v9, v37, v11
	ds_bpermute_b32 v9, v3, v9
	s_waitcnt lgkmcnt(0)
	v_fmac_f32_e32 v9, v37, v11
	v_cvt_f16_f32_e32 v11, v11
	ds_bpermute_b32 v10, v5, v9
	v_mul_u32_u24_sdwa v12, v11, v12 dst_sel:DWORD dst_unused:UNUSED_PAD src0_sel:WORD_0 src1_sel:DWORD
	v_pk_mul_f16 v11, v183, v12
	v_pk_mul_f16 v12, v182, v12
	ds_write_b64 v0, v[11:12]
	s_waitcnt lgkmcnt(1)
	v_add_f32_e32 v9, v9, v10
	ds_bpermute_b32 v10, v6, v9
	s_waitcnt lgkmcnt(0)
	v_add_f32_e32 v9, v9, v10
	ds_bpermute_b32 v10, v7, v9
	;; [unrolled: 3-line block ×3, first 2 shown]
	s_and_saveexec_b32 s0, vcc_lo
	s_cbranch_execz .LBB18_34
; %bb.33:
	s_waitcnt lgkmcnt(0)
	v_add_f32_e32 v0, v9, v10
	ds_write_b32 v4, v0 offset:1152
.LBB18_34:
	s_or_b32 exec_lo, exec_lo, s0
	s_waitcnt lgkmcnt(0)
	s_barrier
	buffer_gl0_inv
	ds_read_b32 v0, v36 offset:1152
	ds_read_u16 v1, v35 offset:768
	s_mul_i32 s0, s33, s28
	s_mov_b32 s3, 0
	s_add_i32 s0, s0, s6
	s_mul_i32 s0, s0, s29
	s_add_i32 s0, s0, s30
	s_mul_i32 s0, s1, s0
	s_add_i32 s2, s0, s7
	s_cmp_eq_u32 s1, 1
	s_waitcnt lgkmcnt(1)
	ds_bpermute_b32 v3, v3, v0
	s_waitcnt lgkmcnt(1)
	v_cvt_f32_f16_e32 v1, v1
	s_waitcnt lgkmcnt(0)
	v_add_f32_e32 v0, v0, v3
	ds_bpermute_b32 v3, v5, v0
	s_waitcnt lgkmcnt(0)
	v_add_f32_e32 v0, v0, v3
	ds_bpermute_b32 v3, v6, v0
	ds_read_u16 v4, v35
	ds_read_u16 v5, v35 offset:256
	ds_read_u16 v6, v35 offset:512
	s_waitcnt lgkmcnt(1)
	v_cvt_f32_f16_e32 v5, v5
	v_add_f32_e32 v0, v0, v3
	s_waitcnt lgkmcnt(0)
	v_cvt_f32_f16_e32 v6, v6
	ds_bpermute_b32 v3, v7, v0
	s_waitcnt lgkmcnt(0)
	v_add_f32_e32 v0, v0, v3
	v_cvt_f32_f16_e32 v3, v4
	ds_bpermute_b32 v4, v8, v0
	v_add_f32_e32 v3, 0, v3
	v_add_f32_e32 v3, v3, v5
	;; [unrolled: 1-line block ×4, first 2 shown]
	s_waitcnt lgkmcnt(0)
	v_add_f32_e32 v3, v0, v4
	v_div_scale_f32 v0, null, v3, v3, v6
	v_div_scale_f32 v5, vcc_lo, v6, v3, v6
	v_rcp_f32_e32 v4, v0
	v_fma_f32 v1, -v0, v4, 1.0
	v_fmac_f32_e32 v4, v1, v4
	v_mul_f32_e32 v7, v5, v4
	v_fma_f32 v1, -v0, v7, v5
	v_fmac_f32_e32 v7, v1, v4
	v_mov_b32_e32 v1, 0
	v_fma_f32 v5, -v0, v7, v5
	v_lshl_or_b32 v0, s2, 7, v34
	v_div_fmas_f32 v7, v5, v4, v7
	v_lshlrev_b64 v[4:5], 2, v[0:1]
	v_cmp_eq_u32_e32 vcc_lo, 0, v34
	v_div_fixup_f32 v0, v7, v3, v6
	v_add_co_u32 v4, s0, s20, v4
	v_add_co_ci_u32_e64 v5, null, s21, v5, s0
	s_cselect_b32 s0, -1, 0
	s_cmp_lg_u32 s1, 1
	v_cndmask_b32_e64 v0, v6, v0, s0
	s_cselect_b32 s0, -1, 0
	s_and_b32 s0, vcc_lo, s0
	global_store_dword v[4:5], v0, off
	s_and_saveexec_b32 s1, s0
	s_cbranch_execz .LBB18_36
; %bb.35:
	s_lshl_b64 s[0:1], s[2:3], 3
	s_add_u32 s0, s22, s0
	s_addc_u32 s1, s23, s1
	global_store_dwordx2 v1, v[2:3], s[0:1]
.LBB18_36:
	s_endpgm
	.section	.rodata,"a",@progbits
	.p2align	6, 0x0
	.amdhsa_kernel _ZL18flash_attn_ext_vecILi128ELi1EL9ggml_type2ELS0_8ELb1EEvPKcS2_S2_S2_S2_PKiPfP15HIP_vector_typeIfLj2EEffffjfiS6_IjLj3EEiiiiiiiiiiiliiliiiiil
		.amdhsa_group_segment_fixed_size 1280
		.amdhsa_private_segment_fixed_size 0
		.amdhsa_kernarg_size 464
		.amdhsa_user_sgpr_count 6
		.amdhsa_user_sgpr_private_segment_buffer 1
		.amdhsa_user_sgpr_dispatch_ptr 0
		.amdhsa_user_sgpr_queue_ptr 0
		.amdhsa_user_sgpr_kernarg_segment_ptr 1
		.amdhsa_user_sgpr_dispatch_id 0
		.amdhsa_user_sgpr_flat_scratch_init 0
		.amdhsa_user_sgpr_private_segment_size 0
		.amdhsa_wavefront_size32 1
		.amdhsa_uses_dynamic_stack 0
		.amdhsa_system_sgpr_private_segment_wavefront_offset 0
		.amdhsa_system_sgpr_workgroup_id_x 1
		.amdhsa_system_sgpr_workgroup_id_y 1
		.amdhsa_system_sgpr_workgroup_id_z 1
		.amdhsa_system_sgpr_workgroup_info 0
		.amdhsa_system_vgpr_workitem_id 1
		.amdhsa_next_free_vgpr 220
		.amdhsa_next_free_sgpr 51
		.amdhsa_reserve_vcc 1
		.amdhsa_reserve_flat_scratch 0
		.amdhsa_float_round_mode_32 0
		.amdhsa_float_round_mode_16_64 0
		.amdhsa_float_denorm_mode_32 3
		.amdhsa_float_denorm_mode_16_64 3
		.amdhsa_dx10_clamp 1
		.amdhsa_ieee_mode 1
		.amdhsa_fp16_overflow 0
		.amdhsa_workgroup_processor_mode 1
		.amdhsa_memory_ordered 1
		.amdhsa_forward_progress 1
		.amdhsa_shared_vgpr_count 0
		.amdhsa_exception_fp_ieee_invalid_op 0
		.amdhsa_exception_fp_denorm_src 0
		.amdhsa_exception_fp_ieee_div_zero 0
		.amdhsa_exception_fp_ieee_overflow 0
		.amdhsa_exception_fp_ieee_underflow 0
		.amdhsa_exception_fp_ieee_inexact 0
		.amdhsa_exception_int_div_zero 0
	.end_amdhsa_kernel
	.section	.text._ZL18flash_attn_ext_vecILi128ELi1EL9ggml_type2ELS0_8ELb1EEvPKcS2_S2_S2_S2_PKiPfP15HIP_vector_typeIfLj2EEffffjfiS6_IjLj3EEiiiiiiiiiiiliiliiiiil,"axG",@progbits,_ZL18flash_attn_ext_vecILi128ELi1EL9ggml_type2ELS0_8ELb1EEvPKcS2_S2_S2_S2_PKiPfP15HIP_vector_typeIfLj2EEffffjfiS6_IjLj3EEiiiiiiiiiiiliiliiiiil,comdat
.Lfunc_end18:
	.size	_ZL18flash_attn_ext_vecILi128ELi1EL9ggml_type2ELS0_8ELb1EEvPKcS2_S2_S2_S2_PKiPfP15HIP_vector_typeIfLj2EEffffjfiS6_IjLj3EEiiiiiiiiiiiliiliiiiil, .Lfunc_end18-_ZL18flash_attn_ext_vecILi128ELi1EL9ggml_type2ELS0_8ELb1EEvPKcS2_S2_S2_S2_PKiPfP15HIP_vector_typeIfLj2EEffffjfiS6_IjLj3EEiiiiiiiiiiiliiliiiiil
                                        ; -- End function
	.set _ZL18flash_attn_ext_vecILi128ELi1EL9ggml_type2ELS0_8ELb1EEvPKcS2_S2_S2_S2_PKiPfP15HIP_vector_typeIfLj2EEffffjfiS6_IjLj3EEiiiiiiiiiiiliiliiiiil.num_vgpr, 220
	.set _ZL18flash_attn_ext_vecILi128ELi1EL9ggml_type2ELS0_8ELb1EEvPKcS2_S2_S2_S2_PKiPfP15HIP_vector_typeIfLj2EEffffjfiS6_IjLj3EEiiiiiiiiiiiliiliiiiil.num_agpr, 0
	.set _ZL18flash_attn_ext_vecILi128ELi1EL9ggml_type2ELS0_8ELb1EEvPKcS2_S2_S2_S2_PKiPfP15HIP_vector_typeIfLj2EEffffjfiS6_IjLj3EEiiiiiiiiiiiliiliiiiil.numbered_sgpr, 51
	.set _ZL18flash_attn_ext_vecILi128ELi1EL9ggml_type2ELS0_8ELb1EEvPKcS2_S2_S2_S2_PKiPfP15HIP_vector_typeIfLj2EEffffjfiS6_IjLj3EEiiiiiiiiiiiliiliiiiil.num_named_barrier, 0
	.set _ZL18flash_attn_ext_vecILi128ELi1EL9ggml_type2ELS0_8ELb1EEvPKcS2_S2_S2_S2_PKiPfP15HIP_vector_typeIfLj2EEffffjfiS6_IjLj3EEiiiiiiiiiiiliiliiiiil.private_seg_size, 0
	.set _ZL18flash_attn_ext_vecILi128ELi1EL9ggml_type2ELS0_8ELb1EEvPKcS2_S2_S2_S2_PKiPfP15HIP_vector_typeIfLj2EEffffjfiS6_IjLj3EEiiiiiiiiiiiliiliiiiil.uses_vcc, 1
	.set _ZL18flash_attn_ext_vecILi128ELi1EL9ggml_type2ELS0_8ELb1EEvPKcS2_S2_S2_S2_PKiPfP15HIP_vector_typeIfLj2EEffffjfiS6_IjLj3EEiiiiiiiiiiiliiliiiiil.uses_flat_scratch, 0
	.set _ZL18flash_attn_ext_vecILi128ELi1EL9ggml_type2ELS0_8ELb1EEvPKcS2_S2_S2_S2_PKiPfP15HIP_vector_typeIfLj2EEffffjfiS6_IjLj3EEiiiiiiiiiiiliiliiiiil.has_dyn_sized_stack, 0
	.set _ZL18flash_attn_ext_vecILi128ELi1EL9ggml_type2ELS0_8ELb1EEvPKcS2_S2_S2_S2_PKiPfP15HIP_vector_typeIfLj2EEffffjfiS6_IjLj3EEiiiiiiiiiiiliiliiiiil.has_recursion, 0
	.set _ZL18flash_attn_ext_vecILi128ELi1EL9ggml_type2ELS0_8ELb1EEvPKcS2_S2_S2_S2_PKiPfP15HIP_vector_typeIfLj2EEffffjfiS6_IjLj3EEiiiiiiiiiiiliiliiiiil.has_indirect_call, 0
	.section	.AMDGPU.csdata,"",@progbits
; Kernel info:
; codeLenInByte = 16176
; TotalNumSgprs: 53
; NumVgprs: 220
; ScratchSize: 0
; MemoryBound: 0
; FloatMode: 240
; IeeeMode: 1
; LDSByteSize: 1280 bytes/workgroup (compile time only)
; SGPRBlocks: 0
; VGPRBlocks: 27
; NumSGPRsForWavesPerEU: 53
; NumVGPRsForWavesPerEU: 220
; Occupancy: 4
; WaveLimiterHint : 0
; COMPUTE_PGM_RSRC2:SCRATCH_EN: 0
; COMPUTE_PGM_RSRC2:USER_SGPR: 6
; COMPUTE_PGM_RSRC2:TRAP_HANDLER: 0
; COMPUTE_PGM_RSRC2:TGID_X_EN: 1
; COMPUTE_PGM_RSRC2:TGID_Y_EN: 1
; COMPUTE_PGM_RSRC2:TGID_Z_EN: 1
; COMPUTE_PGM_RSRC2:TIDIG_COMP_CNT: 1
	.section	.text._ZL18flash_attn_ext_vecILi128ELi2EL9ggml_type2ELS0_8ELb0EEvPKcS2_S2_S2_S2_PKiPfP15HIP_vector_typeIfLj2EEffffjfiS6_IjLj3EEiiiiiiiiiiiliiliiiiil,"axG",@progbits,_ZL18flash_attn_ext_vecILi128ELi2EL9ggml_type2ELS0_8ELb0EEvPKcS2_S2_S2_S2_PKiPfP15HIP_vector_typeIfLj2EEffffjfiS6_IjLj3EEiiiiiiiiiiiliiliiiiil,comdat
	.globl	_ZL18flash_attn_ext_vecILi128ELi2EL9ggml_type2ELS0_8ELb0EEvPKcS2_S2_S2_S2_PKiPfP15HIP_vector_typeIfLj2EEffffjfiS6_IjLj3EEiiiiiiiiiiiliiliiiiil ; -- Begin function _ZL18flash_attn_ext_vecILi128ELi2EL9ggml_type2ELS0_8ELb0EEvPKcS2_S2_S2_S2_PKiPfP15HIP_vector_typeIfLj2EEffffjfiS6_IjLj3EEiiiiiiiiiiiliiliiiiil
	.p2align	8
	.type	_ZL18flash_attn_ext_vecILi128ELi2EL9ggml_type2ELS0_8ELb0EEvPKcS2_S2_S2_S2_PKiPfP15HIP_vector_typeIfLj2EEffffjfiS6_IjLj3EEiiiiiiiiiiiliiliiiiil,@function
_ZL18flash_attn_ext_vecILi128ELi2EL9ggml_type2ELS0_8ELb0EEvPKcS2_S2_S2_S2_PKiPfP15HIP_vector_typeIfLj2EEffffjfiS6_IjLj3EEiiiiiiiiiiiliiliiiiil: ; @_ZL18flash_attn_ext_vecILi128ELi2EL9ggml_type2ELS0_8ELb0EEvPKcS2_S2_S2_S2_PKiPfP15HIP_vector_typeIfLj2EEffffjfiS6_IjLj3EEiiiiiiiiiiiliiliiiiil
; %bb.0:
	s_clause 0x2
	s_load_dwordx2 s[36:37], s[6:7], 0x64
	s_load_dwordx2 s[40:41], s[6:7], 0x80
	;; [unrolled: 1-line block ×3, first 2 shown]
	s_mov_b32 s34, s9
	s_load_dwordx4 s[28:31], s[6:7], 0x40
	v_mov_b32_e32 v77, 1.0
	s_waitcnt lgkmcnt(0)
	v_cvt_f32_u32_e32 v3, s37
	s_sub_i32 s1, 0, s37
	v_rcp_iflag_f32_e32 v3, v3
	v_mul_f32_e32 v3, 0x4f7ffffe, v3
	v_cvt_u32_f32_e32 v3, v3
	v_readfirstlane_b32 s0, v3
	s_mul_i32 s1, s1, s0
	s_mul_hi_u32 s1, s0, s1
	s_add_i32 s0, s0, s1
	s_mul_hi_u32 s0, s10, s0
	s_mul_i32 s1, s0, s37
	s_add_i32 s2, s0, 1
	s_sub_i32 s1, s10, s1
	s_sub_i32 s3, s1, s37
	s_cmp_ge_u32 s1, s37
	s_cselect_b32 s0, s2, s0
	s_cselect_b32 s1, s3, s1
	s_add_i32 s2, s0, 1
	s_cmp_ge_u32 s1, s37
	s_cselect_b32 s33, s2, s0
	s_abs_i32 s0, s41
	s_abs_i32 s9, s37
	v_cvt_f32_u32_e32 v3, s0
	s_sub_i32 s2, 0, s0
	s_xor_b32 s3, s37, s41
	s_ashr_i32 s3, s3, 31
	v_rcp_iflag_f32_e32 v3, v3
	v_mul_f32_e32 v3, 0x4f7ffffe, v3
	v_cvt_u32_f32_e32 v3, v3
	v_readfirstlane_b32 s1, v3
	s_mul_i32 s2, s2, s1
	s_mul_hi_u32 s2, s1, s2
	s_add_i32 s1, s1, s2
	s_mul_i32 s2, s33, s37
	s_mul_hi_u32 s1, s9, s1
	s_sub_i32 s38, s10, s2
	s_mul_i32 s11, s1, s0
	s_sub_i32 s2, s9, s11
	s_add_i32 s9, s1, 1
	s_sub_i32 s10, s2, s0
	s_cmp_ge_u32 s2, s0
	s_cselect_b32 s1, s9, s1
	s_cselect_b32 s2, s10, s2
	s_add_i32 s9, s1, 1
	s_cmp_ge_u32 s2, s0
	s_cselect_b32 s0, s9, s1
	s_abs_i32 s35, s42
	s_xor_b32 s0, s0, s3
	v_cvt_f32_u32_e32 v3, s35
	s_sub_i32 s41, s0, s3
	s_load_dword s0, s[6:7], 0x50
	s_abs_i32 s39, s41
	v_cmp_le_f32_e64 s1, s29, 0
	v_cvt_f32_u32_e32 v4, s39
	v_rcp_iflag_f32_e32 v3, v3
	s_and_b32 vcc_lo, exec_lo, s1
	v_rcp_iflag_f32_e32 v4, v4
	v_mul_f32_e32 v3, 0x4f7ffffe, v3
	v_mul_f32_e32 v4, 0x4f7ffffe, v4
	v_cvt_u32_f32_e32 v3, v3
	v_cvt_u32_f32_e32 v4, v4
	v_readfirstlane_b32 s29, v3
	v_readfirstlane_b32 s42, v4
	s_cbranch_vccnz .LBB19_2
; %bb.1:
	s_waitcnt lgkmcnt(0)
	v_sub_co_u32 v4, vcc_lo, s38, s0
	v_mov_b32_e32 v3, s30
	s_add_i32 s0, s38, 1
	v_lshlrev_b32_e32 v4, 1, v4
	v_cndmask_b32_e32 v3, s31, v3, vcc_lo
	v_or_b32_e32 v4, 1, v4
	v_cndmask_b32_e64 v4, v4, s0, vcc_lo
	v_cmp_neq_f32_e32 vcc_lo, 1.0, v3
	s_mov_b32 s0, 0x3e76c4e1
	v_cvt_f32_i32_e32 v4, v4
	v_cndmask_b32_e32 v5, 1.0, v4, vcc_lo
	v_cmp_neq_f32_e32 vcc_lo, 0, v5
	v_cndmask_b32_e32 v6, 1.0, v3, vcc_lo
	v_frexp_mant_f32_e64 v3, |v6|
	v_cmp_eq_f32_e64 s2, 0, v6
	v_cmp_gt_f32_e32 vcc_lo, 0x3f2aaaab, v3
	v_cndmask_b32_e64 v4, 1.0, 2.0, vcc_lo
	v_mul_f32_e32 v3, v3, v4
	v_add_f32_e32 v4, 1.0, v3
	v_add_f32_e32 v8, -1.0, v3
	v_rcp_f32_e32 v7, v4
	v_add_f32_e32 v10, -1.0, v4
	v_sub_f32_e32 v3, v3, v10
	v_mul_f32_e32 v9, v8, v7
	v_mul_f32_e32 v11, v4, v9
	v_fma_f32 v4, v9, v4, -v11
	v_fmac_f32_e32 v4, v9, v3
	v_add_f32_e32 v3, v11, v4
	v_sub_f32_e32 v10, v8, v3
	v_sub_f32_e32 v11, v3, v11
	v_sub_f32_e32 v8, v8, v10
	v_sub_f32_e32 v4, v11, v4
	v_sub_f32_e32 v3, v8, v3
	v_add_f32_e32 v3, v4, v3
	v_add_f32_e32 v3, v10, v3
	v_mul_f32_e32 v3, v7, v3
	v_add_f32_e32 v7, v9, v3
	v_sub_f32_e32 v4, v7, v9
	v_mul_f32_e32 v8, v7, v7
	v_sub_f32_e32 v9, v3, v4
	v_fma_f32 v3, v7, v7, -v8
	v_add_f32_e32 v4, v9, v9
	v_fmac_f32_e32 v3, v7, v4
	v_add_f32_e32 v10, v8, v3
	v_fmaak_f32 v4, s0, v10, 0x3e91f4c4
	v_sub_f32_e32 v8, v10, v8
	v_mul_f32_e32 v15, v7, v10
	v_fmaak_f32 v4, v10, v4, 0x3ecccdef
	v_sub_f32_e32 v8, v3, v8
	v_fma_f32 v16, v10, v7, -v15
	v_mul_f32_e32 v11, v10, v4
	v_fmac_f32_e32 v16, v10, v9
	v_ldexp_f32 v9, v9, 1
	v_fma_f32 v12, v10, v4, -v11
	v_fmac_f32_e32 v16, v8, v7
	v_fmac_f32_e32 v12, v8, v4
	v_cvt_f64_f32_e64 v[3:4], |v6|
	v_add_f32_e32 v13, v11, v12
	v_sub_f32_e32 v11, v13, v11
	v_add_f32_e32 v14, 0x3f2aaaaa, v13
	v_sub_f32_e32 v11, v12, v11
	v_add_f32_e32 v12, 0xbf2aaaaa, v14
	v_add_f32_e32 v11, 0x31739010, v11
	v_sub_f32_e32 v12, v13, v12
	v_frexp_exp_i32_f64_e32 v3, v[3:4]
	v_add_f32_e32 v10, v11, v12
	v_add_f32_e32 v11, v15, v16
	v_add_f32_e32 v8, v14, v10
	v_sub_f32_e32 v13, v11, v15
	v_sub_f32_e32 v4, v14, v8
	v_mul_f32_e32 v12, v11, v8
	v_sub_f32_e32 v13, v16, v13
	v_add_f32_e32 v4, v10, v4
	v_fma_f32 v10, v11, v8, -v12
	v_subrev_co_ci_u32_e64 v3, null, 0, v3, vcc_lo
	v_fmac_f32_e32 v10, v11, v4
	v_ldexp_f32 v4, v7, 1
	v_cvt_f32_i32_e32 v3, v3
	v_fmac_f32_e32 v10, v13, v8
	v_add_f32_e32 v7, v12, v10
	v_add_f32_e32 v8, v4, v7
	v_sub_f32_e32 v11, v7, v12
	v_mul_f32_e32 v12, 0x3f317218, v3
	v_sub_f32_e32 v4, v8, v4
	v_sub_f32_e32 v10, v10, v11
	v_fma_f32 v11, 0x3f317218, v3, -v12
	v_sub_f32_e32 v4, v7, v4
	v_add_f32_e32 v7, v9, v10
	v_fmamk_f32 v3, v3, 0xb102e308, v11
	v_add_f32_e32 v4, v7, v4
	v_add_f32_e32 v7, v12, v3
	;; [unrolled: 1-line block ×3, first 2 shown]
	v_sub_f32_e32 v12, v7, v12
	v_add_f32_e32 v10, v7, v9
	v_sub_f32_e32 v8, v9, v8
	v_sub_f32_e32 v3, v3, v12
	;; [unrolled: 1-line block ×6, first 2 shown]
	v_add_f32_e32 v9, v3, v4
	v_sub_f32_e32 v7, v7, v13
	v_add_f32_e32 v7, v8, v7
	v_sub_f32_e32 v8, v9, v3
	;; [unrolled: 2-line block ×3, first 2 shown]
	v_sub_f32_e32 v4, v4, v8
	v_add_f32_e32 v11, v10, v7
	v_sub_f32_e32 v3, v3, v9
	v_sub_f32_e32 v8, v11, v10
	v_add_f32_e32 v3, v4, v3
	v_sub_f32_e32 v4, v7, v8
	v_add_f32_e32 v3, v3, v4
	v_add_f32_e32 v4, v11, v3
	v_sub_f32_e32 v7, v4, v11
	v_mul_f32_e32 v8, v5, v4
	v_sub_f32_e32 v3, v3, v7
	v_fma_f32 v4, v5, v4, -v8
	v_cmp_class_f32_e64 vcc_lo, v8, 0x204
	v_fmac_f32_e32 v4, v5, v3
	v_add_f32_e32 v3, v8, v4
	v_cndmask_b32_e32 v7, v3, v8, vcc_lo
	v_sub_f32_e32 v3, v3, v8
	v_cmp_eq_f32_e32 vcc_lo, 0x42b17218, v7
	v_sub_f32_e32 v3, v4, v3
	v_cndmask_b32_e64 v9, 0, 0x37000000, vcc_lo
	v_cmp_neq_f32_e64 vcc_lo, 0x7f800000, |v7|
	v_sub_f32_e32 v10, v7, v9
	v_cndmask_b32_e32 v3, 0, v3, vcc_lo
	v_trunc_f32_e32 v7, v5
	v_mul_f32_e32 v11, 0x3fb8aa3b, v10
	v_cmp_ngt_f32_e32 vcc_lo, 0xc2ce8ed0, v10
	v_add_f32_e32 v3, v9, v3
	v_fma_f32 v12, 0x3fb8aa3b, v10, -v11
	v_rndne_f32_e32 v13, v11
	v_fmamk_f32 v12, v10, 0x32a5705f, v12
	v_sub_f32_e32 v11, v11, v13
	v_cvt_i32_f32_e32 v8, v13
	v_add_f32_e32 v11, v11, v12
	v_exp_f32_e32 v11, v11
	v_ldexp_f32 v4, v11, v8
	v_mul_f32_e32 v8, 0.5, v5
	v_cndmask_b32_e32 v4, 0, v4, vcc_lo
	v_cmp_nlt_f32_e32 vcc_lo, 0x42b17218, v10
	v_trunc_f32_e32 v11, v8
	v_cndmask_b32_e32 v4, 0x7f800000, v4, vcc_lo
	v_cmp_eq_f32_e32 vcc_lo, v7, v5
	v_cmp_neq_f32_e64 s0, v11, v8
	v_fma_f32 v3, v4, v3, v4
	v_cmp_class_f32_e64 s1, v4, 0x204
	s_and_b32 s0, vcc_lo, s0
	v_cndmask_b32_e64 v7, 1.0, v6, s0
	v_cndmask_b32_e64 v3, v3, v4, s1
	v_cmp_gt_f32_e64 s1, 0, v5
	v_bfi_b32 v3, 0x7fffffff, v3, v7
	s_xor_b32 s1, s1, s2
	v_cndmask_b32_e64 v7, 0, v6, s0
	v_cndmask_b32_e64 v4, 0x7f800000, 0, s1
	v_cmp_class_f32_e64 s0, v6, 0x204
	v_cndmask_b32_e32 v5, 0x7fc00000, v3, vcc_lo
	v_cmp_gt_f32_e32 vcc_lo, 0, v6
	v_bfi_b32 v4, 0x7fffffff, v4, v7
	v_cndmask_b32_e32 v3, v3, v5, vcc_lo
	s_or_b32 vcc_lo, s2, s0
	v_cndmask_b32_e32 v3, v3, v4, vcc_lo
	v_cmp_o_f32_e32 vcc_lo, v6, v6
	v_cndmask_b32_e32 v77, 0x7fc00000, v3, vcc_lo
.LBB19_2:
	s_waitcnt lgkmcnt(0)
	s_load_dwordx2 s[0:1], s[4:5], 0x4
	s_load_dwordx16 s[12:27], s[6:7], 0x0
	v_mov_b32_e32 v14, 0
	v_lshlrev_b32_e32 v72, 8, v1
	v_lshlrev_b32_e32 v74, 2, v0
	s_lshl_b32 s30, s8, 1
	s_mov_b32 s4, exec_lo
	s_waitcnt lgkmcnt(0)
	v_mul_u32_u24_e32 v3, s1, v1
	s_lshr_b32 s0, s0, 16
	s_mul_i32 s0, s0, s1
	v_mad_u32_u24 v3, s0, v0, v3
	v_cmp_lt_u32_e64 s0, 1, v1
	v_add_lshl_u32 v20, v3, v2, 4
	v_add_nc_u32_e32 v2, 0x604, v20
	v_add_nc_u32_e32 v3, 0x400, v20
	ds_write2_b32 v2, v14, v14 offset1:1
	ds_write2_b32 v3, v14, v14 offset0:128 offset1:131
	v_cmpx_gt_u32_e32 2, v1
	s_cbranch_execz .LBB19_13
; %bb.3:
	v_or_b32_e32 v2, s30, v1
	v_add_nc_u32_e32 v3, v72, v74
	s_mov_b32 s1, exec_lo
	v_cmpx_le_i32_e64 s36, v2
	s_xor_b32 s1, exec_lo, s1
	s_cbranch_execz .LBB19_7
; %bb.4:
	v_mov_b32_e32 v2, 0
	s_mov_b32 s2, exec_lo
	ds_write_b32 v3, v2
	v_cmpx_gt_u32_e32 4, v0
; %bb.5:
	v_add_nc_u32_e32 v4, v3, v74
	v_mov_b32_e32 v3, v2
	ds_write_b64 v4, v[2:3] offset:128
; %bb.6:
	s_or_b32 exec_lo, exec_lo, s2
                                        ; implicit-def: $vgpr3
.LBB19_7:
	s_andn2_saveexec_b32 s1, s1
	s_cbranch_execz .LBB19_13
; %bb.8:
	s_load_dwordx4 s[44:47], s[6:7], 0x70
	v_lshlrev_b32_e32 v4, 2, v74
	s_mov_b32 s5, exec_lo
	s_waitcnt lgkmcnt(0)
	v_mul_lo_u32 v2, s44, v1
	s_mul_i32 s1, s33, s46
	s_mul_i32 s2, s44, s30
	;; [unrolled: 1-line block ×3, first 2 shown]
	s_add_i32 s1, s1, s2
	s_add_i32 s1, s1, s3
	s_ashr_i32 s2, s1, 31
	v_ashrrev_i32_e32 v5, 31, v2
	s_add_u32 s1, s12, s1
	s_addc_u32 s2, s13, s2
	v_add_co_u32 v2, vcc_lo, s1, v2
	v_add_co_ci_u32_e64 v5, null, s2, v5, vcc_lo
	v_add_co_u32 v4, vcc_lo, v2, v4
	v_add_co_ci_u32_e64 v5, null, 0, v5, vcc_lo
	v_mbcnt_lo_u32_b32 v2, -1, 0
	global_load_dwordx4 v[10:13], v[4:5], off
	v_xor_b32_e32 v5, 4, v2
	v_xor_b32_e32 v15, 2, v2
	;; [unrolled: 1-line block ×3, first 2 shown]
	v_cmp_gt_i32_e32 vcc_lo, 32, v5
	v_cndmask_b32_e32 v5, v2, v5, vcc_lo
	v_cmp_gt_i32_e32 vcc_lo, 32, v15
	v_lshlrev_b32_e32 v5, 2, v5
	v_cndmask_b32_e32 v15, v2, v15, vcc_lo
	v_cmp_gt_i32_e32 vcc_lo, 32, v16
	v_lshlrev_b32_e32 v15, 2, v15
	v_cndmask_b32_e32 v2, v2, v16, vcc_lo
	v_lshlrev_b32_e32 v2, 2, v2
	s_waitcnt vmcnt(0)
	v_mul_f32_e32 v4, s28, v10
	v_mul_f32_e32 v6, s28, v11
	;; [unrolled: 1-line block ×4, first 2 shown]
	v_max_f32_e64 v7, |v4|, |v6|
	v_fma_f32 v10, s28, v10, v6
	v_max3_f32 v7, v7, |v9|, |v8|
	v_fmac_f32_e32 v10, s28, v12
	ds_bpermute_b32 v11, v5, v7
	v_fmac_f32_e32 v10, s28, v13
	ds_bpermute_b32 v5, v5, v10
	s_waitcnt lgkmcnt(1)
	v_max_f32_e32 v11, v11, v11
	v_max_f32_e32 v7, v7, v11
	s_waitcnt lgkmcnt(0)
	v_add_f32_e32 v5, v10, v5
	ds_bpermute_b32 v11, v15, v7
	ds_bpermute_b32 v10, v15, v5
	s_waitcnt lgkmcnt(1)
	v_max_f32_e32 v11, v11, v11
	s_waitcnt lgkmcnt(0)
	v_add_f32_e32 v5, v5, v10
	v_mov_b32_e32 v10, 0
	v_max_f32_e32 v7, v7, v11
	ds_bpermute_b32 v11, v2, v7
	s_waitcnt lgkmcnt(0)
	v_max_f32_e32 v11, v11, v11
	v_max_f32_e32 v11, v7, v11
	v_div_scale_f32 v12, null, 0x42fe0000, 0x42fe0000, v11
	v_div_scale_f32 v15, vcc_lo, v11, 0x42fe0000, v11
	v_rcp_f32_e32 v13, v12
	v_fma_f32 v7, -v12, v13, 1.0
	v_fmac_f32_e32 v13, v7, v13
	v_mul_f32_e32 v16, v15, v13
	v_fma_f32 v7, -v12, v16, v15
	v_fmac_f32_e32 v16, v7, v13
	ds_bpermute_b32 v7, v2, v5
	v_fma_f32 v2, -v12, v16, v15
	v_div_fmas_f32 v2, v2, v13, v16
	v_div_fixup_f32 v2, v2, 0x42fe0000, v11
	v_cmpx_neq_f32_e32 0, v2
	s_cbranch_execz .LBB19_10
; %bb.9:
	v_div_scale_f32 v10, null, v2, v2, v4
	v_div_scale_f32 v11, null, v2, v2, v6
	;; [unrolled: 1-line block ×3, first 2 shown]
	v_rcp_f32_e32 v12, v10
	v_div_scale_f32 v15, null, v2, v2, v8
	v_rcp_f32_e32 v16, v11
	v_rcp_f32_e32 v17, v13
	v_div_scale_f32 v22, vcc_lo, v4, v2, v4
	v_rcp_f32_e32 v18, v15
	v_fma_f32 v19, -v10, v12, 1.0
	v_fma_f32 v21, -v11, v16, 1.0
	;; [unrolled: 1-line block ×3, first 2 shown]
	v_fmac_f32_e32 v12, v19, v12
	v_div_scale_f32 v19, s1, v6, v2, v6
	v_fma_f32 v24, -v15, v18, 1.0
	v_fmac_f32_e32 v16, v21, v16
	v_fmac_f32_e32 v17, v23, v17
	v_div_scale_f32 v21, s2, v9, v2, v9
	v_fmac_f32_e32 v18, v24, v18
	v_mul_f32_e32 v24, v22, v12
	v_mul_f32_e32 v25, v19, v16
	;; [unrolled: 1-line block ×3, first 2 shown]
	v_div_scale_f32 v23, s3, v8, v2, v8
	v_fma_f32 v28, -v10, v24, v22
	v_fma_f32 v29, -v11, v25, v19
	v_fma_f32 v30, -v13, v26, v21
	v_mul_f32_e32 v27, v23, v18
	v_fmac_f32_e32 v24, v28, v12
	v_fmac_f32_e32 v25, v29, v16
	;; [unrolled: 1-line block ×3, first 2 shown]
	v_fma_f32 v31, -v15, v27, v23
	v_fma_f32 v10, -v10, v24, v22
	;; [unrolled: 1-line block ×4, first 2 shown]
	v_fmac_f32_e32 v27, v31, v18
	v_div_fmas_f32 v10, v10, v12, v24
	s_mov_b32 vcc_lo, s1
	v_div_fmas_f32 v11, v11, v16, v25
	s_mov_b32 vcc_lo, s2
	v_div_fixup_f32 v4, v10, v2, v4
	v_div_fmas_f32 v12, v13, v17, v26
	v_fma_f32 v13, -v15, v27, v23
	s_mov_b32 vcc_lo, s3
	v_div_fixup_f32 v6, v11, v2, v6
	v_div_fixup_f32 v9, v12, v2, v9
	v_div_fmas_f32 v12, v13, v18, v27
	v_trunc_f32_e32 v11, v6
	v_trunc_f32_e32 v13, v9
	v_div_fixup_f32 v8, v12, v2, v8
	v_trunc_f32_e32 v12, v4
	v_sub_f32_e32 v16, v6, v11
	v_sub_f32_e32 v10, v9, v13
	v_trunc_f32_e32 v15, v8
	v_sub_f32_e32 v18, v4, v12
	v_cmp_ge_f32_e64 s1, |v10|, 0.5
	v_sub_f32_e32 v17, v8, v15
	v_cndmask_b32_e64 v10, 0, 1.0, s1
	v_cmp_ge_f32_e64 s1, |v16|, 0.5
	v_bfi_b32 v9, 0x7fffffff, v10, v9
	v_cndmask_b32_e64 v10, 0, 1.0, s1
	v_cmp_ge_f32_e64 s1, |v17|, 0.5
	v_add_f32_e32 v9, v13, v9
	v_bfi_b32 v6, 0x7fffffff, v10, v6
	v_cndmask_b32_e64 v16, 0, 1.0, s1
	v_cmp_ge_f32_e64 s1, |v18|, 0.5
	v_mov_b32_e32 v10, 8
	v_cvt_i32_f32_e32 v9, v9
	v_add_f32_e32 v6, v11, v6
	v_bfi_b32 v8, 0x7fffffff, v16, v8
	v_cndmask_b32_e64 v13, 0, 1.0, s1
	v_and_b32_e32 v9, 0xff, v9
	v_cvt_i32_f32_e32 v6, v6
	v_add_f32_e32 v8, v15, v8
	v_bfi_b32 v4, 0x7fffffff, v13, v4
	v_lshlrev_b32_e32 v9, 16, v9
	v_lshlrev_b32_sdwa v6, v10, v6 dst_sel:DWORD dst_unused:UNUSED_PAD src0_sel:DWORD src1_sel:BYTE_0
	v_cvt_i32_f32_e32 v8, v8
	v_add_f32_e32 v4, v12, v4
	v_lshl_or_b32 v8, v8, 24, v9
	v_cvt_i32_f32_e32 v4, v4
	v_and_b32_e32 v4, 0xff, v4
	v_or3_b32 v10, v8, v6, v4
.LBB19_10:
	s_or_b32 exec_lo, exec_lo, s5
	v_and_b32_e32 v4, 7, v0
	s_mov_b32 s1, exec_lo
	ds_write_b32 v3, v10
	v_cmpx_eq_u32_e32 0, v4
	s_cbranch_execz .LBB19_12
; %bb.11:
	s_waitcnt lgkmcnt(1)
	v_add_f32_e32 v3, v5, v7
	v_add_nc_u32_e32 v4, v72, v0
	ds_write_b64 v4, v[2:3] offset:128
.LBB19_12:
	s_or_b32 exec_lo, exec_lo, s1
.LBB19_13:
	s_or_b32 exec_lo, exec_lo, s4
	v_and_b32_e32 v21, 1, v0
	s_waitcnt lgkmcnt(0)
	s_barrier
	buffer_gl0_inv
	s_cmp_eq_u64 s[22:23], 0
	v_lshlrev_b32_e32 v18, 2, v21
	s_mov_b32 s31, s40
	ds_read_b128 v[2:5], v14 offset:128
	ds_read_b128 v[6:9], v14 offset:144
	ds_read2_b32 v[38:39], v18 offset1:2
	ds_read2_b32 v[40:41], v18 offset0:4 offset1:6
	ds_read2_b32 v[42:43], v18 offset0:8 offset1:10
	;; [unrolled: 1-line block ×12, first 2 shown]
	ds_read_b128 v[10:13], v14 offset:384
	ds_read_b128 v[14:17], v14 offset:400
	ds_read2_b32 v[64:65], v18 offset0:84 offset1:86
	ds_read2_b32 v[66:67], v18 offset0:88 offset1:90
	;; [unrolled: 1-line block ×3, first 2 shown]
	s_waitcnt lgkmcnt(0)
	s_barrier
	buffer_gl0_inv
	s_cbranch_scc1 .LBB19_15
; %bb.14:
	s_load_dword s1, s[6:7], 0xd0
	s_mov_b32 s3, 0
	s_waitcnt lgkmcnt(0)
	s_mul_i32 s1, s1, s33
	s_add_i32 s2, s1, s8
	s_lshl_b64 s[2:3], s[2:3], 2
	s_add_u32 s2, s22, s2
	s_addc_u32 s3, s23, s3
	s_load_dword s31, s[2:3], 0x0
.LBB19_15:
	v_lshlrev_b32_e32 v19, 5, v1
	v_add_nc_u32_e32 v76, 0x600, v20
	v_mbcnt_lo_u32_b32 v78, -1, 0
	s_lshl_b32 s2, s34, 7
	s_mov_b32 s3, 0
	v_add_nc_u32_e32 v73, v19, v0
	s_waitcnt lgkmcnt(0)
	s_cmp_ge_i32 s2, s31
	v_lshlrev_b32_e32 v75, 1, v73
	s_cbranch_scc1 .LBB19_27
; %bb.16:
	s_clause 0x1
	s_load_dwordx4 s[8:11], s[6:7], 0x98
	s_load_dwordx2 s[12:13], s[6:7], 0x8c
	s_sub_i32 s1, 0, s39
	s_sub_i32 s4, 0, s35
	s_mul_i32 s1, s1, s42
	s_abs_i32 s22, s38
	s_mul_hi_u32 s1, s42, s1
	s_mul_i32 s4, s4, s29
	s_add_i32 s42, s42, s1
	s_ashr_i32 s23, s38, 31
	s_ashr_i32 s41, s41, 31
	;; [unrolled: 1-line block ×3, first 2 shown]
	s_mul_hi_u32 s1, s29, s4
	s_mul_hi_u32 s4, s22, s42
	s_xor_b32 s44, s23, s41
	s_add_i32 s29, s29, s1
	s_mul_i32 s1, s4, s39
	s_abs_i32 s28, s33
	s_sub_i32 s1, s22, s1
	s_add_i32 s23, s4, 1
	s_waitcnt lgkmcnt(0)
	s_mul_hi_u32 s41, s8, s33
	s_mul_i32 s42, s8, s5
	s_mul_i32 s9, s9, s33
	s_add_i32 s41, s41, s42
	v_and_b32_e32 v20, 0x7e, v0
	s_add_i32 s41, s41, s9
	s_sub_i32 s9, s1, s39
	s_cmp_ge_u32 s1, s39
	v_bfe_u32 v26, v0, 3, 27
	s_cselect_b32 s4, s23, s4
	s_cselect_b32 s1, s9, s1
	s_add_i32 s9, s4, 1
	s_cmp_ge_u32 s1, s39
	s_load_dwordx2 s[22:23], s[6:7], 0xc8
	s_cselect_b32 s1, s9, s4
	s_mul_hi_u32 s4, s28, s29
	s_xor_b32 s1, s1, s44
	s_mul_i32 s4, s4, s35
	s_sub_i32 s45, s1, s44
	s_sub_i32 s1, s28, s4
	s_mul_i32 s42, s45, s13
	s_mul_i32 s45, s45, s11
	s_ashr_i32 s44, s42, 31
	s_ashr_i32 s46, s45, 31
	s_sub_i32 s4, s1, s35
	s_cmp_ge_u32 s1, s35
	s_mul_i32 s11, s43, s30
	s_cselect_b32 s1, s4, s1
	s_clause 0x1
	s_load_dword s4, s[6:7], 0xd4
	s_load_dwordx2 s[28:29], s[6:7], 0xa8
	s_sub_i32 s9, s1, s35
	s_cmp_ge_u32 s1, s35
	v_add_nc_u32_e32 v20, v19, v20
	s_cselect_b32 s1, s9, s1
	v_mul_hi_u32_u24_e32 v27, 34, v26
	s_xor_b32 s1, s1, s5
	v_mul_u32_u24_e32 v26, 34, v26
	s_sub_i32 s1, s1, s5
	v_add_nc_u32_e32 v22, s40, v20
	s_ashr_i32 s9, s1, 31
	s_waitcnt lgkmcnt(0)
	s_mul_hi_u32 s13, s22, s1
	s_mul_i32 s9, s22, s9
	s_mul_i32 s23, s23, s1
	s_add_i32 s43, s13, s9
	s_ashr_i32 s13, s11, 31
	s_add_i32 s43, s43, s23
	s_cmp_lg_u64 s[18:19], 0
	s_mul_i32 s47, s22, s1
	s_cselect_b32 s9, -1, 0
	s_lshl_b32 s4, s4, 7
	s_cmp_lt_i32 s30, s36
	v_ashrrev_i32_e32 v23, 31, v22
	s_cselect_b32 s1, -1, 0
	v_mul_lo_u32 v28, v19, s10
	s_and_b32 s35, s9, s1
	s_or_b32 s1, s30, 1
	v_mad_u64_u32 v[32:33], null, s28, s33, v[26:27]
	s_cmp_lt_i32 s1, s36
	v_lshlrev_b64 v[22:23], 1, v[22:23]
	s_cselect_b32 s22, -1, 0
	s_mul_i32 s29, s29, s33
	s_and_b32 s39, s9, s22
	s_ashr_i32 s9, s40, 31
	v_add_co_u32 v24, s22, s40, v20
	v_add_co_ci_u32_e64 v25, null, s9, 0, s22
	s_add_u32 s48, s14, s42
	s_addc_u32 s40, s15, s44
	s_lshl_b64 s[22:23], s[2:3], 1
	v_lshlrev_b64 v[24:25], 1, v[24:25]
	s_add_u32 s9, s18, s22
	s_addc_u32 s49, s19, s23
	s_add_u32 s9, s9, s47
	s_mul_i32 s5, s28, s5
	s_addc_u32 s49, s49, s43
	v_add_co_u32 v79, vcc_lo, s9, v22
	v_and_b32_e32 v29, 28, v74
	v_ashrrev_i32_e32 v30, 31, v28
	v_add3_u32 v33, s5, s29, v33
	v_add_co_ci_u32_e64 v80, null, s49, v23, vcc_lo
	v_add_co_u32 v24, vcc_lo, s9, v24
	v_add_nc_u32_e32 v26, 31, v19
	v_cmp_eq_u32_e64 s1, 0, v21
	v_add_nc_u32_e32 v21, s10, v28
	v_add_co_ci_u32_e64 v25, null, s49, v25, vcc_lo
	v_add_co_u32 v22, vcc_lo, v32, v28
	v_add_co_ci_u32_e64 v23, null, v33, v30, vcc_lo
	v_add_co_u32 v29, vcc_lo, v32, v29
	v_mul_lo_u32 v35, s10, v26
	v_add_co_ci_u32_e64 v34, null, 0, v33, vcc_lo
	v_add_nc_u32_e32 v83, s10, v21
	v_add_co_u32 v26, vcc_lo, v29, v28
	v_add_nc_u32_e32 v36, 30, v19
	v_add_co_ci_u32_e64 v27, null, v34, v30, vcc_lo
	v_add_co_u32 v31, vcc_lo, v29, s45
	v_add_nc_u32_e32 v86, s10, v83
	v_add_co_ci_u32_e64 v30, null, s46, v34, vcc_lo
	v_ashrrev_i32_e32 v34, 31, v35
	v_add_nc_u32_e32 v37, 29, v19
	v_mul_lo_u32 v36, s10, v36
	v_add_co_u32 v28, vcc_lo, v31, v35
	v_add_nc_u32_e32 v87, s10, v86
	v_add_nc_u32_e32 v71, 28, v19
	v_add_co_ci_u32_e64 v29, null, v30, v34, vcc_lo
	v_add_co_u32 v84, vcc_lo, v32, s45
	v_mul_lo_u32 v81, s10, v37
	v_add_co_ci_u32_e64 v85, null, s46, v33, vcc_lo
	v_add_nc_u32_e32 v88, s10, v87
	v_ashrrev_i32_e32 v70, 31, v36
	v_mul_lo_u32 v89, s10, v71
	v_add_co_u32 v32, vcc_lo, v84, v35
	v_add_co_ci_u32_e64 v33, null, v85, v34, vcc_lo
	v_add_co_u32 v34, vcc_lo, v31, v36
	v_add_nc_u32_e32 v91, 27, v19
	v_ashrrev_i32_e32 v82, 31, v81
	v_add_nc_u32_e32 v90, s10, v88
	v_add_co_ci_u32_e64 v35, null, v30, v70, vcc_lo
	v_add_co_u32 v36, vcc_lo, v84, v36
	v_add_co_ci_u32_e64 v37, null, v85, v70, vcc_lo
	v_add_co_u32 v70, vcc_lo, v31, v81
	v_ashrrev_i32_e32 v93, 31, v89
	v_mul_lo_u32 v91, s10, v91
	v_add_co_ci_u32_e64 v71, null, v30, v82, vcc_lo
	v_add_nc_u32_e32 v92, s10, v90
	v_add_co_u32 v81, vcc_lo, v84, v81
	v_add_nc_u32_e32 v95, 26, v19
	v_add_co_ci_u32_e64 v82, null, v85, v82, vcc_lo
	v_add_co_u32 v117, vcc_lo, v31, v89
	v_add_co_ci_u32_e64 v118, null, v30, v93, vcc_lo
	v_add_co_u32 v119, vcc_lo, v84, v89
	v_add_nc_u32_e32 v94, s10, v92
	v_add_co_ci_u32_e64 v120, null, v85, v93, vcc_lo
	v_mul_lo_u32 v93, s10, v95
	v_ashrrev_i32_e32 v89, 31, v91
	v_add_nc_u32_e32 v97, 25, v19
	v_add_nc_u32_e32 v96, s10, v94
	v_add_co_u32 v121, vcc_lo, v31, v91
	v_add_co_ci_u32_e64 v122, null, v30, v89, vcc_lo
	v_add_co_u32 v123, vcc_lo, v84, v91
	v_mul_lo_u32 v91, s10, v97
	v_add_co_ci_u32_e64 v124, null, v85, v89, vcc_lo
	v_ashrrev_i32_e32 v89, 31, v93
	v_add_nc_u32_e32 v95, s10, v96
	v_add_co_u32 v125, vcc_lo, v31, v93
	v_add_nc_u32_e32 v101, 24, v19
	v_add_co_ci_u32_e64 v126, null, v30, v89, vcc_lo
	v_add_co_u32 v127, vcc_lo, v84, v93
	v_add_nc_u32_e32 v98, s10, v95
	v_add_co_ci_u32_e64 v128, null, v85, v89, vcc_lo
	v_ashrrev_i32_e32 v89, 31, v91
	v_add_co_u32 v129, vcc_lo, v31, v91
	v_add_nc_u32_e32 v97, s10, v98
	v_add_nc_u32_e32 v93, 23, v19
	v_add_co_ci_u32_e64 v130, null, v30, v89, vcc_lo
	v_add_co_u32 v131, vcc_lo, v84, v91
	v_add_co_ci_u32_e64 v132, null, v85, v89, vcc_lo
	v_mul_lo_u32 v89, s10, v101
	v_add_nc_u32_e32 v99, s10, v97
	v_add_nc_u32_e32 v103, 22, v19
	v_mul_lo_u32 v93, s10, v93
	v_add_nc_u32_e32 v104, 21, v19
	v_add_nc_u32_e32 v105, 20, v19
	;; [unrolled: 1-line block ×3, first 2 shown]
	v_mul_lo_u32 v103, s10, v103
	v_ashrrev_i32_e32 v143, 31, v89
	v_add_co_u32 v145, vcc_lo, v31, v89
	v_add_nc_u32_e32 v102, s10, v100
	v_mul_lo_u32 v104, s10, v104
	v_ashrrev_i32_e32 v91, 31, v93
	v_add_co_ci_u32_e64 v146, null, v30, v143, vcc_lo
	v_add_co_u32 v147, vcc_lo, v84, v89
	v_add_nc_u32_e32 v106, 19, v19
	v_add_co_ci_u32_e64 v143, null, v85, v143, vcc_lo
	v_add_co_u32 v148, vcc_lo, v31, v93
	v_mul_lo_u32 v105, s10, v105
	v_ashrrev_i32_e32 v109, 31, v103
	v_add_nc_u32_e32 v107, s10, v102
	v_add_co_ci_u32_e64 v149, null, v30, v91, vcc_lo
	v_add_co_u32 v150, vcc_lo, v84, v93
	v_add_co_ci_u32_e64 v151, null, v85, v91, vcc_lo
	v_add_co_u32 v152, vcc_lo, v31, v103
	v_mul_lo_u32 v106, s10, v106
	v_ashrrev_i32_e32 v110, 31, v104
	v_add_co_ci_u32_e64 v153, null, v30, v109, vcc_lo
	v_add_co_u32 v154, vcc_lo, v84, v103
	v_add_nc_u32_e32 v108, s10, v107
	v_add_co_ci_u32_e64 v155, null, v85, v109, vcc_lo
	v_add_co_u32 v156, vcc_lo, v31, v104
	v_ashrrev_i32_e32 v111, 31, v105
	v_add_co_ci_u32_e64 v157, null, v30, v110, vcc_lo
	v_add_co_u32 v158, vcc_lo, v84, v104
	v_add_nc_u32_e32 v101, s10, v108
	v_add_co_ci_u32_e64 v159, null, v85, v110, vcc_lo
	v_add_co_u32 v160, vcc_lo, v31, v105
	v_ashrrev_i32_e32 v112, 31, v106
	v_add_co_ci_u32_e64 v161, null, v30, v111, vcc_lo
	v_add_co_u32 v162, vcc_lo, v84, v105
	v_add_co_ci_u32_e64 v163, null, v85, v111, vcc_lo
	v_add_co_u32 v164, vcc_lo, v31, v106
	v_ashrrev_i32_e32 v113, 31, v101
	v_add_co_ci_u32_e64 v165, null, v30, v112, vcc_lo
	v_add_co_u32 v166, vcc_lo, v84, v106
	;; [unrolled: 5-line block ×17, first 2 shown]
	v_add_co_ci_u32_e64 v227, null, v85, v144, vcc_lo
	v_add_co_u32 v228, vcc_lo, v31, v86
	v_ashrrev_i32_e32 v91, 31, v83
	v_and_b32_e32 v87, 30, v78
	v_add_co_ci_u32_e64 v229, null, v30, v89, vcc_lo
	v_add_co_u32 v230, vcc_lo, v84, v86
	v_add_co_ci_u32_e64 v231, null, v85, v89, vcc_lo
	v_add_co_u32 v232, vcc_lo, v31, v83
	v_ashrrev_i32_e32 v93, 31, v21
	v_add_co_ci_u32_e64 v233, null, v30, v91, vcc_lo
	v_add_co_u32 v234, vcc_lo, v84, v83
	v_add_nc_u32_e32 v86, 2, v87
	v_xor_b32_e32 v87, 1, v78
	v_add_co_ci_u32_e64 v235, null, v85, v91, vcc_lo
	v_add_co_u32 v31, vcc_lo, v31, v21
	v_add_co_ci_u32_e64 v30, null, v30, v93, vcc_lo
	v_add_co_u32 v236, vcc_lo, v84, v21
	v_add_co_ci_u32_e64 v237, null, v85, v93, vcc_lo
	v_cmp_lt_i32_e32 vcc_lo, v87, v86
	v_xor_b32_e32 v84, 2, v78
	v_xor_b32_e32 v85, 4, v78
	;; [unrolled: 1-line block ×3, first 2 shown]
	s_mul_i32 s29, s8, s33
	v_cndmask_b32_e32 v21, v78, v87, vcc_lo
	v_cmp_gt_i32_e32 vcc_lo, 32, v84
	v_xor_b32_e32 v87, 16, v78
	s_mov_b32 s5, s3
	v_add_co_u32 v18, s3, s29, v18
	v_lshlrev_b32_e32 v83, 2, v21
	v_mul_lo_u32 v21, v20, s12
	v_cndmask_b32_e32 v84, v78, v84, vcc_lo
	v_cmp_gt_i32_e32 vcc_lo, 32, v85
	v_add_co_ci_u32_e64 v95, null, s41, 0, s3
	s_lshl_b64 s[8:9], s[4:5], 1
	v_lshlrev_b32_e32 v20, 1, v20
	v_cndmask_b32_e32 v85, v78, v85, vcc_lo
	v_cmp_gt_i32_e32 vcc_lo, 32, v86
	v_add_nc_u32_e32 v93, s12, v21
	s_add_u32 s3, s47, s22
	s_addc_u32 s5, s43, s23
	v_lshlrev_b32_e32 v88, 1, v19
	v_cndmask_b32_e32 v86, v78, v86, vcc_lo
	v_cmp_gt_i32_e32 vcc_lo, 32, v87
	v_ashrrev_i32_e32 v94, 31, v93
	s_add_u32 s3, s18, s3
	s_addc_u32 s5, s19, s5
	v_add_co_u32 v20, s3, s3, v20
	v_cndmask_b32_e32 v87, v78, v87, vcc_lo
	v_add_co_u32 v19, vcc_lo, v18, v93
	v_add_co_ci_u32_e64 v90, null, v95, v94, vcc_lo
	v_add_co_ci_u32_e64 v92, null, s5, 0, s3
	v_add_co_u32 v89, vcc_lo, s48, v19
	v_add_co_ci_u32_e64 v90, null, s40, v90, vcc_lo
	v_add_co_u32 v91, vcc_lo, v20, 2
	v_add_co_ci_u32_e64 v92, null, 0, v92, vcc_lo
	;; [unrolled: 2-line block ×3, first 2 shown]
	v_ashrrev_i32_e32 v20, 31, v21
	v_add_co_u32 v18, vcc_lo, v18, v21
	s_add_u32 s3, s48, s29
	s_addc_u32 s5, s40, s41
	v_add_co_ci_u32_e64 v19, null, v19, v20, vcc_lo
	v_add_co_u32 v93, vcc_lo, s3, v93
	v_add_co_ci_u32_e64 v94, null, s5, v94, vcc_lo
	v_add_co_u32 v95, vcc_lo, s14, v18
	s_add_u32 s3, s16, s45
	s_addc_u32 s5, s17, s46
	v_add_co_ci_u32_e64 v96, null, s15, v19, vcc_lo
	v_add_co_u32 v97, vcc_lo, v24, 2
	s_add_u32 s18, s29, s42
	s_addc_u32 s19, s41, s44
	v_add_co_ci_u32_e64 v98, null, 0, v25, vcc_lo
	v_add_co_u32 v99, vcc_lo, s3, v22
	s_add_u32 s14, s14, s18
	v_add_co_ci_u32_e64 v100, null, s5, v23, vcc_lo
	s_addc_u32 s15, s15, s19
	v_add_co_u32 v18, vcc_lo, s14, v21
	v_add_co_ci_u32_e64 v19, null, s15, v20, vcc_lo
	v_add_co_u32 v101, vcc_lo, s3, v26
	v_add_co_ci_u32_e64 v102, null, s5, v27, vcc_lo
	;; [unrolled: 2-line block ×57, first 2 shown]
	v_add_co_u32 v213, vcc_lo, s16, v224
	ds_read_b128 v[18:21], v76
	v_add_co_ci_u32_e64 v214, null, s17, v225, vcc_lo
	v_add_co_u32 v215, vcc_lo, s16, v226
	v_add_co_ci_u32_e64 v216, null, s17, v227, vcc_lo
	v_add_co_u32 v217, vcc_lo, s16, v228
	;; [unrolled: 2-line block ×7, first 2 shown]
	v_lshlrev_b32_e32 v84, 2, v84
	v_lshlrev_b32_e32 v85, 2, v85
	;; [unrolled: 1-line block ×4, first 2 shown]
	v_add_co_ci_u32_e64 v228, null, s17, v237, vcc_lo
	v_mov_b32_e32 v82, 0
	v_mov_b32_e32 v23, 0xfeffffff
	;; [unrolled: 1-line block ×6, first 2 shown]
	s_mul_i32 s28, s10, s2
	s_mul_i32 s3, s12, s2
	;; [unrolled: 1-line block ×4, first 2 shown]
.LBB19_17:                              ; =>This Inner Loop Header: Depth=1
	v_add_co_u32 v24, vcc_lo, v95, s3
	v_add_co_ci_u32_e64 v25, null, 0, v96, vcc_lo
	v_add_co_u32 v29, vcc_lo, v103, s3
	v_add_co_ci_u32_e64 v30, null, 0, v104, vcc_lo
	s_clause 0x5
	global_load_dword v31, v[24:25], off offset:2
	global_load_dword v32, v[24:25], off offset:10
	;; [unrolled: 1-line block ×6, first 2 shown]
	global_load_ushort v26, v[29:30], off offset:-54
	global_load_dword v236, v[24:25], off offset:56
	global_load_ushort v28, v[29:30], off offset:-36
	global_load_dword v24, v[24:25], off offset:64
	s_clause 0x1
	global_load_ushort v27, v[29:30], off offset:-18
	global_load_ushort v25, v[29:30], off
	v_mov_b32_e32 v29, 0
	v_mov_b32_e32 v30, 0
	;; [unrolled: 1-line block ×16, first 2 shown]
	s_and_b32 vcc_lo, exec_lo, s35
	s_waitcnt vmcnt(11)
	v_and_b32_e32 v235, 0xf0f0f0f, v31
	s_waitcnt vmcnt(10)
	v_and_b32_e32 v233, 0xf0f0f0f, v32
	v_lshrrev_b32_e32 v31, 4, v31
	v_lshrrev_b32_e32 v32, 4, v32
	s_waitcnt vmcnt(9)
	v_and_b32_e32 v71, 0xf0f0f0f, v33
	v_dot4c_i32_i8 v29, v235, v38
	v_dot4c_i32_i8 v30, v233, v39
	v_and_b32_e32 v234, 0xf0f0f0f, v31
	v_and_b32_e32 v232, 0xf0f0f0f, v32
	v_lshrrev_b32_e32 v249, 4, v33
	v_cvt_f32_i32_e32 v29, v29
	v_cvt_f32_i32_e32 v30, v30
	v_dot4c_i32_i8 v70, v234, v40
	s_waitcnt vmcnt(7)
	v_and_b32_e32 v33, 0xf0f0f0f, v35
	v_lshrrev_b32_e32 v32, 4, v35
	v_fma_f32 v29, v2, v29, -v3
	v_dot4c_i32_i8 v231, v232, v41
	v_fma_f32 v30, v2, v30, -v3
	v_cvt_f32_i32_e32 v35, v70
	v_and_b32_e32 v37, 0xf0f0f0f, v34
	s_waitcnt vmcnt(5)
	v_fma_mix_f32 v29, v29, v26, 0 op_sel_hi:[0,1,0]
	v_and_b32_e32 v31, 0xf0f0f0f, v36
	v_lshrrev_b32_e32 v250, 4, v36
	v_dot4c_i32_i8 v237, v71, v42
	v_cvt_f32_i32_e32 v36, v231
	v_fma_f32 v35, v2, v35, -v3
	v_fma_mix_f32 v29, v30, v26, v29 op_sel_hi:[0,1,0]
	v_lshrrev_b32_e32 v34, 4, v34
	v_and_b32_e32 v231, 0xf0f0f0f, v249
	v_dot4c_i32_i8 v238, v37, v43
	v_cvt_f32_i32_e32 v30, v237
	v_fma_f32 v36, v2, v36, -v3
	v_fma_mix_f32 v29, v35, v26, v29 op_sel_hi:[0,1,0]
	v_and_b32_e32 v70, 0xf0f0f0f, v34
	v_cvt_f32_i32_e32 v34, v238
	v_dot4c_i32_i8 v239, v231, v44
	v_fma_f32 v35, v4, v30, -v5
	v_fma_mix_f32 v29, v36, v26, v29 op_sel_hi:[0,1,0]
	v_dot4c_i32_i8 v240, v70, v45
	v_fma_f32 v34, v4, v34, -v5
	v_cvt_f32_i32_e32 v36, v239
	v_dot4c_i32_i8 v241, v33, v46
	s_waitcnt vmcnt(3)
	v_fma_mix_f32 v35, v35, v28, v29 op_sel_hi:[0,1,0]
	v_cvt_f32_i32_e32 v237, v240
	v_dot4c_i32_i8 v242, v31, v47
	v_fma_f32 v238, v4, v36, -v5
	v_and_b32_e32 v36, 0xf0f0f0f, v32
	v_fma_mix_f32 v34, v34, v28, v35 op_sel_hi:[0,1,0]
	v_cvt_f32_i32_e32 v32, v241
	v_fma_f32 v237, v4, v237, -v5
	v_and_b32_e32 v35, 0xf0f0f0f, v250
	v_dot4c_i32_i8 v243, v36, v48
	v_fma_mix_f32 v34, v238, v28, v34 op_sel_hi:[0,1,0]
	v_cvt_f32_i32_e32 v238, v242
	v_fma_f32 v32, v6, v32, -v7
	v_and_b32_e32 v30, 0xf0f0f0f, v236
	v_dot4c_i32_i8 v244, v35, v49
	v_fma_mix_f32 v34, v237, v28, v34 op_sel_hi:[0,1,0]
	v_fma_f32 v237, v6, v238, -v7
	v_cvt_f32_i32_e32 v238, v243
	s_waitcnt vmcnt(2)
	v_and_b32_e32 v29, 0xf0f0f0f, v24
	v_lshrrev_b32_e32 v236, 4, v236
	s_waitcnt vmcnt(1)
	v_fma_mix_f32 v32, v32, v27, v34 op_sel_hi:[0,1,0]
	v_dot4c_i32_i8 v245, v30, v50
	v_cvt_f32_i32_e32 v239, v244
	v_fma_f32 v238, v6, v238, -v7
	v_lshrrev_b32_e32 v24, 4, v24
	v_fma_mix_f32 v32, v237, v27, v32 op_sel_hi:[0,1,0]
	v_and_b32_e32 v34, 0xf0f0f0f, v236
	v_dot4c_i32_i8 v246, v29, v51
	v_cvt_f32_i32_e32 v236, v245
	v_fma_f32 v237, v6, v239, -v7
	v_fma_mix_f32 v238, v238, v27, v32 op_sel_hi:[0,1,0]
	v_and_b32_e32 v32, 0xf0f0f0f, v24
	v_cvt_f32_i32_e32 v24, v246
	v_dot4c_i32_i8 v247, v34, v52
	v_fma_f32 v236, v8, v236, -v9
	v_fma_mix_f32 v237, v237, v27, v238 op_sel_hi:[0,1,0]
	v_dot4c_i32_i8 v248, v32, v53
	v_fma_f32 v24, v8, v24, -v9
	v_cvt_f32_i32_e32 v238, v247
	s_waitcnt vmcnt(0)
	v_fma_mix_f32 v236, v236, v25, v237 op_sel_hi:[0,1,0]
	v_cvt_f32_i32_e32 v237, v248
	v_fma_f32 v238, v8, v238, -v9
	v_fma_mix_f32 v24, v24, v25, v236 op_sel_hi:[0,1,0]
	v_fma_f32 v236, v8, v237, -v9
	v_fma_mix_f32 v24, v238, v25, v24 op_sel_hi:[0,1,0]
	v_fma_mix_f32 v24, v236, v25, v24 op_sel_hi:[0,1,0]
	ds_bpermute_b32 v236, v83, v24
	s_waitcnt lgkmcnt(0)
	v_add_f32_e32 v24, v24, v236
	s_cbranch_vccz .LBB19_19
; %bb.18:                               ;   in Loop: Header=BB19_17 Depth=1
	v_add_co_u32 v236, vcc_lo, v91, s11
	v_add_co_ci_u32_e64 v237, null, s13, v92, vcc_lo
	global_load_ushort v236, v[236:237], off offset:-2
	s_waitcnt vmcnt(0)
	v_fma_mix_f32 v24, v77, v236, v24 op_sel_hi:[0,1,0]
.LBB19_19:                              ;   in Loop: Header=BB19_17 Depth=1
	v_mov_b32_e32 v236, 0
	v_mov_b32_e32 v237, 0
	v_cvt_f32_f16_e32 v26, v26
	v_cvt_f32_f16_e32 v28, v28
	;; [unrolled: 1-line block ×3, first 2 shown]
	v_dot4c_i32_i8 v236, v235, v54
	v_mov_b32_e32 v235, 0
	v_dot4c_i32_i8 v237, v233, v55
	v_cvt_f32_f16_e32 v25, v25
	s_andn2_b32 vcc_lo, exec_lo, s39
	v_cvt_f32_i32_e32 v233, v236
	v_mov_b32_e32 v236, 0
	v_dot4c_i32_i8 v235, v234, v56
	v_cvt_f32_i32_e32 v234, v237
	v_mov_b32_e32 v237, 0
	v_fma_f32 v233, v10, v233, -v11
	v_dot4c_i32_i8 v236, v232, v57
	v_cvt_f32_i32_e32 v232, v235
	v_fma_f32 v234, v10, v234, -v11
	v_mov_b32_e32 v235, 0
	v_fma_f32 v233, v233, v26, 0
	v_dot4c_i32_i8 v237, v71, v58
	v_cvt_f32_i32_e32 v71, v236
	v_fma_f32 v232, v10, v232, -v11
	v_dot4c_i32_i8 v235, v37, v59
	v_fmac_f32_e32 v233, v234, v26
	v_mov_b32_e32 v234, 0
	v_cvt_f32_i32_e32 v37, v237
	v_fma_f32 v71, v10, v71, -v11
	v_fmac_f32_e32 v233, v232, v26
	v_mov_b32_e32 v232, 0
	v_dot4c_i32_i8 v234, v231, v60
	v_cvt_f32_i32_e32 v231, v235
	v_fma_f32 v37, v12, v37, -v13
	v_fmac_f32_e32 v233, v71, v26
	v_mov_b32_e32 v26, 0
	v_dot4c_i32_i8 v232, v70, v61
	;; [unrolled: 5-line block ×8, first 2 shown]
	v_cvt_f32_i32_e32 v28, v28
	v_fma_f32 v29, v14, v30, -v15
	v_fmac_f32_e32 v233, v31, v27
	v_dot4c_i32_i8 v33, v34, v68
	v_cvt_f32_i32_e32 v26, v26
	v_fma_f32 v28, v16, v28, -v17
	v_fmac_f32_e32 v233, v29, v27
	v_mov_b32_e32 v27, 0
	v_cvt_f32_i32_e32 v29, v33
	v_fma_f32 v26, v16, v26, -v17
	v_fmac_f32_e32 v233, v28, v25
	v_dot4c_i32_i8 v27, v32, v69
	v_fma_f32 v28, v16, v29, -v17
	v_fmac_f32_e32 v233, v26, v25
	v_cvt_f32_i32_e32 v26, v27
	v_fmac_f32_e32 v233, v28, v25
	v_fma_f32 v26, v16, v26, -v17
	v_fmac_f32_e32 v233, v26, v25
	ds_bpermute_b32 v25, v83, v233
	s_waitcnt lgkmcnt(0)
	v_add_f32_e32 v25, v233, v25
	s_cbranch_vccnz .LBB19_21
; %bb.20:                               ;   in Loop: Header=BB19_17 Depth=1
	v_add_co_u32 v26, vcc_lo, v79, s11
	v_add_co_ci_u32_e64 v27, null, s13, v80, vcc_lo
	global_load_ushort v26, v[26:27], off
	s_waitcnt vmcnt(0)
	v_fma_mix_f32 v25, v77, v26, v25 op_sel_hi:[0,1,0]
.LBB19_21:                              ;   in Loop: Header=BB19_17 Depth=1
	v_add_co_u32 v29, vcc_lo, v89, s3
	v_add_co_ci_u32_e64 v30, null, 0, v90, vcc_lo
	v_add_co_u32 v31, vcc_lo, v93, s3
	v_add_co_ci_u32_e64 v32, null, 0, v94, vcc_lo
	s_clause 0x5
	global_load_dword v33, v[29:30], off offset:2
	global_load_dword v34, v[29:30], off offset:10
	global_load_dword v35, v[29:30], off offset:20
	global_load_dword v36, v[29:30], off offset:28
	global_load_dword v37, v[29:30], off offset:38
	global_load_dword v70, v[29:30], off offset:46
	s_clause 0x1
	global_load_ushort v27, v[31:32], off
	global_load_ushort v28, v[31:32], off offset:18
	s_clause 0x1
	global_load_dword v238, v[29:30], off offset:56
	global_load_dword v30, v[29:30], off offset:64
	s_clause 0x1
	global_load_ushort v29, v[31:32], off offset:36
	global_load_ushort v26, v[31:32], off offset:54
	v_mov_b32_e32 v31, 0
	v_mov_b32_e32 v32, 0
	;; [unrolled: 1-line block ×16, first 2 shown]
	s_andn2_b32 vcc_lo, exec_lo, s35
	s_waitcnt vmcnt(11)
	v_and_b32_e32 v237, 0xf0f0f0f, v33
	s_waitcnt vmcnt(10)
	v_and_b32_e32 v235, 0xf0f0f0f, v34
	v_lshrrev_b32_e32 v33, 4, v33
	v_lshrrev_b32_e32 v34, 4, v34
	s_waitcnt vmcnt(9)
	v_and_b32_e32 v232, 0xf0f0f0f, v35
	v_dot4c_i32_i8 v31, v237, v38
	v_dot4c_i32_i8 v32, v235, v39
	v_and_b32_e32 v236, 0xf0f0f0f, v33
	v_and_b32_e32 v234, 0xf0f0f0f, v34
	s_waitcnt vmcnt(8)
	v_and_b32_e32 v71, 0xf0f0f0f, v36
	v_cvt_f32_i32_e32 v31, v31
	v_cvt_f32_i32_e32 v32, v32
	v_dot4c_i32_i8 v231, v236, v40
	v_dot4c_i32_i8 v233, v234, v41
	v_lshrrev_b32_e32 v251, 4, v35
	v_fma_f32 v31, v2, v31, -v3
	v_fma_f32 v32, v2, v32, -v3
	v_cvt_f32_i32_e32 v34, v231
	v_dot4c_i32_i8 v239, v232, v42
	v_cvt_f32_i32_e32 v231, v233
	s_waitcnt vmcnt(5)
	v_fma_mix_f32 v31, v31, v27, 0 op_sel_hi:[0,1,0]
	v_lshrrev_b32_e32 v36, 4, v36
	v_fma_f32 v34, v2, v34, -v3
	v_and_b32_e32 v233, 0xf0f0f0f, v251
	v_dot4c_i32_i8 v240, v71, v43
	v_fma_mix_f32 v31, v32, v27, v31 op_sel_hi:[0,1,0]
	v_cvt_f32_i32_e32 v32, v239
	v_fma_f32 v239, v2, v231, -v3
	v_and_b32_e32 v231, 0xf0f0f0f, v36
	v_dot4c_i32_i8 v241, v233, v44
	v_fma_mix_f32 v31, v34, v27, v31 op_sel_hi:[0,1,0]
	v_cvt_f32_i32_e32 v34, v240
	v_fma_f32 v32, v4, v32, -v5
	v_and_b32_e32 v35, 0xf0f0f0f, v37
	v_and_b32_e32 v33, 0xf0f0f0f, v70
	v_fma_mix_f32 v31, v239, v27, v31 op_sel_hi:[0,1,0]
	v_lshrrev_b32_e32 v36, 4, v70
	v_dot4c_i32_i8 v242, v231, v45
	v_fma_f32 v34, v4, v34, -v5
	v_cvt_f32_i32_e32 v70, v241
	s_waitcnt vmcnt(4)
	v_fma_mix_f32 v32, v32, v28, v31 op_sel_hi:[0,1,0]
	v_lshrrev_b32_e32 v37, 4, v37
	v_dot4c_i32_i8 v243, v35, v46
	v_cvt_f32_i32_e32 v239, v242
	v_fma_f32 v240, v4, v70, -v5
	v_fma_mix_f32 v32, v34, v28, v32 op_sel_hi:[0,1,0]
	v_and_b32_e32 v70, 0xf0f0f0f, v37
	v_dot4c_i32_i8 v244, v33, v47
	v_cvt_f32_i32_e32 v34, v243
	v_fma_f32 v239, v4, v239, -v5
	v_fma_mix_f32 v32, v240, v28, v32 op_sel_hi:[0,1,0]
	v_and_b32_e32 v37, 0xf0f0f0f, v36
	v_cvt_f32_i32_e32 v36, v244
	v_dot4c_i32_i8 v245, v70, v48
	v_fma_f32 v240, v6, v34, -v7
	v_fma_mix_f32 v32, v239, v28, v32 op_sel_hi:[0,1,0]
	s_waitcnt vmcnt(3)
	v_and_b32_e32 v31, 0xf0f0f0f, v238
	v_dot4c_i32_i8 v246, v37, v49
	v_fma_f32 v36, v6, v36, -v7
	v_cvt_f32_i32_e32 v239, v245
	s_waitcnt vmcnt(1)
	v_fma_mix_f32 v32, v240, v29, v32 op_sel_hi:[0,1,0]
	v_and_b32_e32 v34, 0xf0f0f0f, v30
	v_lshrrev_b32_e32 v238, 4, v238
	v_dot4c_i32_i8 v247, v31, v50
	v_cvt_f32_i32_e32 v240, v246
	v_fma_f32 v239, v6, v239, -v7
	v_fma_mix_f32 v32, v36, v29, v32 op_sel_hi:[0,1,0]
	v_lshrrev_b32_e32 v30, 4, v30
	v_dot4c_i32_i8 v248, v34, v51
	v_cvt_f32_i32_e32 v241, v247
	v_fma_f32 v240, v6, v240, -v7
	v_fma_mix_f32 v239, v239, v29, v32 op_sel_hi:[0,1,0]
	v_and_b32_e32 v36, 0xf0f0f0f, v238
	v_and_b32_e32 v32, 0xf0f0f0f, v30
	v_cvt_f32_i32_e32 v30, v248
	v_fma_f32 v238, v8, v241, -v9
	v_fma_mix_f32 v239, v240, v29, v239 op_sel_hi:[0,1,0]
	v_dot4c_i32_i8 v249, v36, v52
	v_dot4c_i32_i8 v250, v32, v53
	v_fma_f32 v30, v8, v30, -v9
	s_waitcnt vmcnt(0)
	v_fma_mix_f32 v238, v238, v26, v239 op_sel_hi:[0,1,0]
	v_cvt_f32_i32_e32 v239, v249
	v_cvt_f32_i32_e32 v240, v250
	v_fma_mix_f32 v30, v30, v26, v238 op_sel_hi:[0,1,0]
	v_fma_f32 v238, v8, v239, -v9
	v_fma_f32 v239, v8, v240, -v9
	v_fma_mix_f32 v30, v238, v26, v30 op_sel_hi:[0,1,0]
	v_fma_mix_f32 v30, v239, v26, v30 op_sel_hi:[0,1,0]
	ds_bpermute_b32 v238, v83, v30
	s_waitcnt lgkmcnt(0)
	v_add_f32_e32 v30, v30, v238
	s_cbranch_vccnz .LBB19_23
; %bb.22:                               ;   in Loop: Header=BB19_17 Depth=1
	v_add_co_u32 v238, vcc_lo, v91, s11
	v_add_co_ci_u32_e64 v239, null, s13, v92, vcc_lo
	global_load_ushort v238, v[238:239], off
	s_waitcnt vmcnt(0)
	v_fma_mix_f32 v30, v77, v238, v30 op_sel_hi:[0,1,0]
.LBB19_23:                              ;   in Loop: Header=BB19_17 Depth=1
	v_mov_b32_e32 v238, 0
	v_mov_b32_e32 v239, 0
	v_cvt_f32_f16_e32 v27, v27
	v_cvt_f32_f16_e32 v28, v28
	;; [unrolled: 1-line block ×3, first 2 shown]
	v_dot4c_i32_i8 v238, v237, v54
	v_mov_b32_e32 v237, 0
	v_dot4c_i32_i8 v239, v235, v55
	v_cvt_f32_f16_e32 v26, v26
	s_andn2_b32 vcc_lo, exec_lo, s39
	v_cvt_f32_i32_e32 v235, v238
	v_mov_b32_e32 v238, 0
	v_dot4c_i32_i8 v237, v236, v56
	v_cvt_f32_i32_e32 v236, v239
	v_mov_b32_e32 v239, 0
	v_fma_f32 v235, v10, v235, -v11
	v_dot4c_i32_i8 v238, v234, v57
	v_cvt_f32_i32_e32 v234, v237
	v_fma_f32 v236, v10, v236, -v11
	v_mov_b32_e32 v237, 0
	v_fma_f32 v235, v235, v27, 0
	v_dot4c_i32_i8 v239, v232, v58
	v_cvt_f32_i32_e32 v232, v238
	v_fma_f32 v234, v10, v234, -v11
	v_dot4c_i32_i8 v237, v71, v59
	v_fmac_f32_e32 v235, v236, v27
	v_mov_b32_e32 v236, 0
	v_cvt_f32_i32_e32 v71, v239
	v_fma_f32 v232, v10, v232, -v11
	v_fmac_f32_e32 v235, v234, v27
	v_mov_b32_e32 v234, 0
	v_dot4c_i32_i8 v236, v233, v60
	v_cvt_f32_i32_e32 v233, v237
	v_fma_f32 v71, v12, v71, -v13
	v_fmac_f32_e32 v235, v232, v27
	v_mov_b32_e32 v27, 0
	v_dot4c_i32_i8 v234, v231, v61
	;; [unrolled: 5-line block ×8, first 2 shown]
	v_cvt_f32_i32_e32 v28, v28
	v_fma_f32 v31, v14, v31, -v15
	v_fmac_f32_e32 v235, v33, v29
	v_dot4c_i32_i8 v35, v36, v68
	v_cvt_f32_i32_e32 v27, v27
	v_fma_f32 v28, v16, v28, -v17
	v_fmac_f32_e32 v235, v31, v29
	v_mov_b32_e32 v29, 0
	v_cvt_f32_i32_e32 v31, v35
	v_fma_f32 v27, v16, v27, -v17
	v_fmac_f32_e32 v235, v28, v26
	v_dot4c_i32_i8 v29, v32, v69
	v_fma_f32 v28, v16, v31, -v17
	v_fmac_f32_e32 v235, v27, v26
	v_cvt_f32_i32_e32 v27, v29
	v_fmac_f32_e32 v235, v28, v26
	v_fma_f32 v27, v16, v27, -v17
	v_fmac_f32_e32 v235, v27, v26
	ds_bpermute_b32 v26, v83, v235
	s_waitcnt lgkmcnt(0)
	v_add_f32_e32 v26, v235, v26
	s_cbranch_vccnz .LBB19_25
; %bb.24:                               ;   in Loop: Header=BB19_17 Depth=1
	v_add_co_u32 v27, vcc_lo, v97, s11
	v_add_co_ci_u32_e64 v28, null, s13, v98, vcc_lo
	global_load_ushort v27, v[27:28], off
	s_waitcnt vmcnt(0)
	v_fma_mix_f32 v26, v77, v27, v26 op_sel_hi:[0,1,0]
.LBB19_25:                              ;   in Loop: Header=BB19_17 Depth=1
	v_cndmask_b32_e64 v27, v230, v24, s1
	v_add_f32_e32 v24, 0x40051340, v24
	v_add_f32_e32 v28, 0x40051340, v30
	;; [unrolled: 1-line block ×3, first 2 shown]
	s_add_i32 s2, s2, s4
	s_cmp_ge_i32 s2, s31
	v_max3_f32 v24, v23, v24, v28
	v_add_f32_e32 v28, 0x40051340, v25
	v_cndmask_b32_e64 v25, v26, v25, s1
	v_cndmask_b32_e64 v26, v30, v27, s1
	ds_bpermute_b32 v27, v84, v24
	v_max3_f32 v28, v22, v28, v29
	s_waitcnt lgkmcnt(0)
	v_max_f32_e32 v27, v27, v27
	v_max_f32_e32 v24, v24, v27
	ds_bpermute_b32 v27, v85, v24
	s_waitcnt lgkmcnt(0)
	v_max_f32_e32 v27, v27, v27
	v_max_f32_e32 v24, v24, v27
	ds_bpermute_b32 v27, v86, v24
	;; [unrolled: 4-line block ×3, first 2 shown]
	s_waitcnt lgkmcnt(0)
	v_max_f32_e32 v27, v27, v27
	v_max_f32_e32 v70, v24, v27
	v_sub_f32_e32 v23, v23, v70
	v_mul_f32_e32 v24, 0x3fb8aa3b, v23
	v_cmp_ngt_f32_e32 vcc_lo, 0xc2ce8ed0, v23
	v_fma_f32 v27, 0x3fb8aa3b, v23, -v24
	v_rndne_f32_e32 v29, v24
	v_fmac_f32_e32 v27, 0x32a5705f, v23
	v_sub_f32_e32 v24, v24, v29
	v_add_f32_e32 v24, v24, v27
	v_cvt_i32_f32_e32 v27, v29
	v_exp_f32_e32 v24, v24
	v_ldexp_f32 v24, v24, v27
	v_cndmask_b32_e32 v24, 0, v24, vcc_lo
	v_cmp_nlt_f32_e32 vcc_lo, 0x42b17218, v23
	v_cndmask_b32_e32 v23, 0x7f800000, v24, vcc_lo
	v_sub_f32_e32 v24, v26, v70
	v_mul_f32_e32 v26, 0x3fb8aa3b, v24
	v_cmp_ngt_f32_e32 vcc_lo, 0xc2ce8ed0, v24
	v_fma_f32 v27, 0x3fb8aa3b, v24, -v26
	v_rndne_f32_e32 v29, v26
	v_fmac_f32_e32 v27, 0x32a5705f, v24
	v_sub_f32_e32 v26, v26, v29
	v_add_f32_e32 v26, v26, v27
	v_cvt_i32_f32_e32 v27, v29
	v_exp_f32_e32 v26, v26
	v_ldexp_f32 v26, v26, v27
	v_cndmask_b32_e32 v26, 0, v26, vcc_lo
	v_cmp_nlt_f32_e32 vcc_lo, 0x42b17218, v24
	v_cndmask_b32_e32 v230, 0x7f800000, v26, vcc_lo
	v_fma_f32 v82, v82, v23, v230
	v_cvt_f16_f32_e32 v23, v23
	v_cvt_f16_f32_e32 v24, v230
	v_mul_u32_u24_sdwa v23, v23, v229 dst_sel:DWORD dst_unused:UNUSED_PAD src0_sel:WORD_0 src1_sel:DWORD
	ds_write_b16 v75, v24
	v_pk_mul_f16 v235, v18, v23
	ds_bpermute_b32 v18, v84, v28
	v_pk_mul_f16 v236, v19, v23
	s_waitcnt lgkmcnt(0)
	v_max_f32_e32 v18, v18, v18
	v_max_f32_e32 v18, v28, v18
	ds_bpermute_b32 v19, v85, v18
	s_waitcnt lgkmcnt(0)
	v_max_f32_e32 v19, v19, v19
	v_max_f32_e32 v18, v18, v19
	ds_bpermute_b32 v19, v86, v18
	s_waitcnt lgkmcnt(0)
	v_max_f32_e32 v19, v19, v19
	v_max_f32_e32 v18, v18, v19
	ds_bpermute_b32 v19, v87, v18
	s_waitcnt lgkmcnt(0)
	v_max_f32_e32 v19, v19, v19
	v_max_f32_e32 v71, v18, v19
	v_sub_f32_e32 v18, v22, v71
	v_mul_f32_e32 v19, 0x3fb8aa3b, v18
	v_cmp_ngt_f32_e32 vcc_lo, 0xc2ce8ed0, v18
	v_fma_f32 v22, 0x3fb8aa3b, v18, -v19
	v_rndne_f32_e32 v23, v19
	v_fmac_f32_e32 v22, 0x32a5705f, v18
	v_sub_f32_e32 v19, v19, v23
	v_add_f32_e32 v19, v19, v22
	v_cvt_i32_f32_e32 v22, v23
	v_exp_f32_e32 v19, v19
	v_ldexp_f32 v19, v19, v22
	v_cndmask_b32_e32 v19, 0, v19, vcc_lo
	v_cmp_nlt_f32_e32 vcc_lo, 0x42b17218, v18
	v_cndmask_b32_e32 v18, 0x7f800000, v19, vcc_lo
	v_sub_f32_e32 v19, v25, v71
	v_mul_f32_e32 v22, 0x3fb8aa3b, v19
	v_cmp_ngt_f32_e32 vcc_lo, 0xc2ce8ed0, v19
	v_fma_f32 v23, 0x3fb8aa3b, v19, -v22
	v_rndne_f32_e32 v24, v22
	v_fmac_f32_e32 v23, 0x32a5705f, v19
	v_sub_f32_e32 v22, v22, v24
	v_add_f32_e32 v22, v22, v23
	v_cvt_i32_f32_e32 v23, v24
	v_exp_f32_e32 v22, v22
	v_ldexp_f32 v22, v22, v23
	v_cndmask_b32_e32 v22, 0, v22, vcc_lo
	v_cmp_nlt_f32_e32 vcc_lo, 0x42b17218, v19
	v_cndmask_b32_e32 v19, 0x7f800000, v22, vcc_lo
	v_add_co_u32 v231, vcc_lo, v99, s28
	v_add_co_ci_u32_e64 v232, null, 0, v100, vcc_lo
	v_fma_f32 v81, v81, v18, v19
	v_cvt_f16_f32_e32 v18, v18
	v_add_co_u32 v233, vcc_lo, v101, s28
	v_cvt_f16_f32_e32 v19, v19
	v_add_co_ci_u32_e64 v234, null, 0, v102, vcc_lo
	v_mul_u32_u24_sdwa v18, v18, v229 dst_sel:DWORD dst_unused:UNUSED_PAD src0_sel:WORD_0 src1_sel:DWORD
	ds_write_b16 v75, v19 offset:256
	v_pk_mul_f16 v237, v20, v18
	v_pk_mul_f16 v238, v21, v18
	ds_read_b128 v[30:33], v88
	ds_read_b128 v[26:29], v88 offset:16
	ds_read_b128 v[22:25], v88 offset:32
	;; [unrolled: 1-line block ×3, first 2 shown]
	global_load_ushort v231, v[231:232], off
	global_load_dword v232, v[233:234], off offset:2
	ds_read_b128 v[34:37], v88 offset:256
	s_waitcnt lgkmcnt(4)
	v_mul_u32_u24_sdwa v239, v30, v229 dst_sel:DWORD dst_unused:UNUSED_PAD src0_sel:WORD_0 src1_sel:DWORD
	v_mul_u32_u24_sdwa v30, v30, v229 dst_sel:DWORD dst_unused:UNUSED_PAD src0_sel:WORD_1 src1_sel:DWORD
	s_waitcnt lgkmcnt(0)
	v_mul_u32_u24_sdwa v240, v34, v229 dst_sel:DWORD dst_unused:UNUSED_PAD src0_sel:WORD_0 src1_sel:DWORD
	v_mul_u32_u24_sdwa v34, v34, v229 dst_sel:DWORD dst_unused:UNUSED_PAD src0_sel:WORD_1 src1_sel:DWORD
	s_waitcnt vmcnt(1)
	v_mul_u32_u24_e32 v231, 0x10001, v231
	s_waitcnt vmcnt(0)
	v_pk_lshrrev_b16 v233, 8, v232 op_sel:[1,0] op_sel_hi:[0,0]
	v_pk_lshrrev_b16 v232, 8, v232 op_sel:[1,1] op_sel_hi:[0,1]
	v_lshrrev_b32_e32 v234, 16, v233
	v_cvt_f16_i16_sdwa v233, sext(v233) dst_sel:DWORD dst_unused:UNUSED_PAD src0_sel:BYTE_0
	v_cvt_f16_i16_sdwa v234, sext(v234) dst_sel:DWORD dst_unused:UNUSED_PAD src0_sel:BYTE_0
	v_pack_b32_f16 v233, v233, v234
	v_lshrrev_b32_e32 v234, 16, v232
	v_cvt_f16_i16_sdwa v232, sext(v232) dst_sel:DWORD dst_unused:UNUSED_PAD src0_sel:BYTE_0
	v_pk_mul_f16 v233, v233, v231
	v_cvt_f16_i16_sdwa v234, sext(v234) dst_sel:DWORD dst_unused:UNUSED_PAD src0_sel:BYTE_0
	v_pk_fma_f16 v235, v233, v239, v235
	v_pack_b32_f16 v232, v232, v234
	v_pk_fma_f16 v237, v233, v240, v237
	v_pk_mul_f16 v231, v232, v231
	v_pk_fma_f16 v236, v231, v239, v236
	v_pk_fma_f16 v238, v231, v240, v238
	v_add_co_u32 v231, vcc_lo, v227, s28
	v_add_co_ci_u32_e64 v232, null, 0, v228, vcc_lo
	v_add_co_u32 v233, vcc_lo, v225, s28
	v_add_co_ci_u32_e64 v234, null, 0, v226, vcc_lo
	global_load_ushort v231, v[231:232], off
	global_load_dword v232, v[233:234], off offset:2
	s_waitcnt vmcnt(1)
	v_mul_u32_u24_e32 v231, 0x10001, v231
	s_waitcnt vmcnt(0)
	v_pk_lshrrev_b16 v233, 8, v232 op_sel:[1,0] op_sel_hi:[0,0]
	v_pk_lshrrev_b16 v232, 8, v232 op_sel:[1,1] op_sel_hi:[0,1]
	v_lshrrev_b32_e32 v234, 16, v233
	v_cvt_f16_i16_sdwa v233, sext(v233) dst_sel:DWORD dst_unused:UNUSED_PAD src0_sel:BYTE_0
	v_cvt_f16_i16_sdwa v234, sext(v234) dst_sel:DWORD dst_unused:UNUSED_PAD src0_sel:BYTE_0
	v_pack_b32_f16 v233, v233, v234
	v_lshrrev_b32_e32 v234, 16, v232
	v_cvt_f16_i16_sdwa v232, sext(v232) dst_sel:DWORD dst_unused:UNUSED_PAD src0_sel:BYTE_0
	v_pk_mul_f16 v233, v233, v231
	v_cvt_f16_i16_sdwa v234, sext(v234) dst_sel:DWORD dst_unused:UNUSED_PAD src0_sel:BYTE_0
	v_pk_fma_f16 v235, v233, v30, v235
	v_pack_b32_f16 v232, v232, v234
	v_pk_fma_f16 v237, v233, v34, v237
	v_pk_mul_f16 v231, v232, v231
	v_pk_fma_f16 v30, v231, v30, v236
	v_pk_fma_f16 v34, v231, v34, v238
	v_add_co_u32 v231, vcc_lo, v223, s28
	v_add_co_ci_u32_e64 v232, null, 0, v224, vcc_lo
	v_add_co_u32 v233, vcc_lo, v221, s28
	v_add_co_ci_u32_e64 v234, null, 0, v222, vcc_lo
	global_load_ushort v231, v[231:232], off
	v_mul_u32_u24_sdwa v236, v31, v229 dst_sel:DWORD dst_unused:UNUSED_PAD src0_sel:WORD_0 src1_sel:DWORD
	v_mul_u32_u24_sdwa v238, v35, v229 dst_sel:DWORD dst_unused:UNUSED_PAD src0_sel:WORD_0 src1_sel:DWORD
	global_load_dword v232, v[233:234], off offset:2
	s_waitcnt vmcnt(1)
	v_mul_u32_u24_e32 v231, 0x10001, v231
	s_waitcnt vmcnt(0)
	v_pk_lshrrev_b16 v233, 8, v232 op_sel:[1,0] op_sel_hi:[0,0]
	v_pk_lshrrev_b16 v232, 8, v232 op_sel:[1,1] op_sel_hi:[0,1]
	v_lshrrev_b32_e32 v234, 16, v233
	v_cvt_f16_i16_sdwa v233, sext(v233) dst_sel:DWORD dst_unused:UNUSED_PAD src0_sel:BYTE_0
	v_cvt_f16_i16_sdwa v234, sext(v234) dst_sel:DWORD dst_unused:UNUSED_PAD src0_sel:BYTE_0
	v_pack_b32_f16 v233, v233, v234
	v_lshrrev_b32_e32 v234, 16, v232
	v_cvt_f16_i16_sdwa v232, sext(v232) dst_sel:DWORD dst_unused:UNUSED_PAD src0_sel:BYTE_0
	v_pk_mul_f16 v233, v233, v231
	v_cvt_f16_i16_sdwa v234, sext(v234) dst_sel:DWORD dst_unused:UNUSED_PAD src0_sel:BYTE_0
	v_pack_b32_f16 v232, v232, v234
	v_pk_mul_f16 v231, v232, v231
	v_pk_fma_f16 v232, v233, v236, v235
	v_mul_u32_u24_sdwa v235, v31, v229 dst_sel:DWORD dst_unused:UNUSED_PAD src0_sel:WORD_1 src1_sel:DWORD
	v_pk_fma_f16 v233, v233, v238, v237
	v_pk_fma_f16 v234, v231, v236, v30
	v_add_co_u32 v30, vcc_lo, v219, s28
	v_pk_fma_f16 v231, v231, v238, v34
	v_add_co_ci_u32_e64 v31, null, 0, v220, vcc_lo
	v_add_co_u32 v34, vcc_lo, v217, s28
	v_mul_u32_u24_sdwa v236, v35, v229 dst_sel:DWORD dst_unused:UNUSED_PAD src0_sel:WORD_1 src1_sel:DWORD
	v_add_co_ci_u32_e64 v35, null, 0, v218, vcc_lo
	global_load_ushort v30, v[30:31], off
	global_load_dword v31, v[34:35], off offset:2
	s_waitcnt vmcnt(1)
	v_mul_u32_u24_e32 v30, 0x10001, v30
	s_waitcnt vmcnt(0)
	v_pk_lshrrev_b16 v34, 8, v31 op_sel:[1,0] op_sel_hi:[0,0]
	v_pk_lshrrev_b16 v31, 8, v31 op_sel:[1,1] op_sel_hi:[0,1]
	v_lshrrev_b32_e32 v35, 16, v34
	v_cvt_f16_i16_sdwa v34, sext(v34) dst_sel:DWORD dst_unused:UNUSED_PAD src0_sel:BYTE_0
	v_cvt_f16_i16_sdwa v35, sext(v35) dst_sel:DWORD dst_unused:UNUSED_PAD src0_sel:BYTE_0
	v_pack_b32_f16 v34, v34, v35
	v_lshrrev_b32_e32 v35, 16, v31
	v_cvt_f16_i16_sdwa v31, sext(v31) dst_sel:DWORD dst_unused:UNUSED_PAD src0_sel:BYTE_0
	v_pk_mul_f16 v34, v34, v30
	v_cvt_f16_i16_sdwa v35, sext(v35) dst_sel:DWORD dst_unused:UNUSED_PAD src0_sel:BYTE_0
	v_pk_fma_f16 v232, v34, v235, v232
	v_pack_b32_f16 v31, v31, v35
	v_pk_fma_f16 v233, v34, v236, v233
	v_pk_mul_f16 v30, v31, v30
	v_pk_fma_f16 v234, v30, v235, v234
	v_pk_fma_f16 v231, v30, v236, v231
	v_add_co_u32 v30, vcc_lo, v215, s28
	v_add_co_ci_u32_e64 v31, null, 0, v216, vcc_lo
	v_add_co_u32 v34, vcc_lo, v213, s28
	v_add_co_ci_u32_e64 v35, null, 0, v214, vcc_lo
	global_load_ushort v30, v[30:31], off
	v_mul_u32_u24_sdwa v235, v32, v229 dst_sel:DWORD dst_unused:UNUSED_PAD src0_sel:WORD_0 src1_sel:DWORD
	v_mul_u32_u24_sdwa v236, v36, v229 dst_sel:DWORD dst_unused:UNUSED_PAD src0_sel:WORD_0 src1_sel:DWORD
	global_load_dword v31, v[34:35], off offset:2
	v_mul_u32_u24_sdwa v32, v32, v229 dst_sel:DWORD dst_unused:UNUSED_PAD src0_sel:WORD_1 src1_sel:DWORD
	v_mul_u32_u24_sdwa v36, v36, v229 dst_sel:DWORD dst_unused:UNUSED_PAD src0_sel:WORD_1 src1_sel:DWORD
	s_waitcnt vmcnt(1)
	v_mul_u32_u24_e32 v30, 0x10001, v30
	s_waitcnt vmcnt(0)
	v_pk_lshrrev_b16 v34, 8, v31 op_sel:[1,0] op_sel_hi:[0,0]
	v_pk_lshrrev_b16 v31, 8, v31 op_sel:[1,1] op_sel_hi:[0,1]
	v_lshrrev_b32_e32 v35, 16, v34
	v_cvt_f16_i16_sdwa v34, sext(v34) dst_sel:DWORD dst_unused:UNUSED_PAD src0_sel:BYTE_0
	v_cvt_f16_i16_sdwa v35, sext(v35) dst_sel:DWORD dst_unused:UNUSED_PAD src0_sel:BYTE_0
	v_pack_b32_f16 v34, v34, v35
	v_lshrrev_b32_e32 v35, 16, v31
	v_cvt_f16_i16_sdwa v31, sext(v31) dst_sel:DWORD dst_unused:UNUSED_PAD src0_sel:BYTE_0
	v_pk_mul_f16 v34, v34, v30
	v_cvt_f16_i16_sdwa v35, sext(v35) dst_sel:DWORD dst_unused:UNUSED_PAD src0_sel:BYTE_0
	v_pk_fma_f16 v232, v34, v235, v232
	v_pack_b32_f16 v31, v31, v35
	v_pk_fma_f16 v233, v34, v236, v233
	v_pk_mul_f16 v30, v31, v30
	v_pk_fma_f16 v234, v30, v235, v234
	v_pk_fma_f16 v231, v30, v236, v231
	v_add_co_u32 v30, vcc_lo, v211, s28
	v_add_co_ci_u32_e64 v31, null, 0, v212, vcc_lo
	v_add_co_u32 v34, vcc_lo, v209, s28
	v_add_co_ci_u32_e64 v35, null, 0, v210, vcc_lo
	global_load_ushort v30, v[30:31], off
	v_mul_u32_u24_sdwa v235, v26, v229 dst_sel:DWORD dst_unused:UNUSED_PAD src0_sel:WORD_0 src1_sel:DWORD
	v_mul_u32_u24_sdwa v26, v26, v229 dst_sel:DWORD dst_unused:UNUSED_PAD src0_sel:WORD_1 src1_sel:DWORD
	global_load_dword v31, v[34:35], off offset:2
	s_waitcnt vmcnt(1)
	v_mul_u32_u24_e32 v30, 0x10001, v30
	s_waitcnt vmcnt(0)
	v_pk_lshrrev_b16 v34, 8, v31 op_sel:[1,0] op_sel_hi:[0,0]
	v_pk_lshrrev_b16 v31, 8, v31 op_sel:[1,1] op_sel_hi:[0,1]
	v_lshrrev_b32_e32 v35, 16, v34
	v_cvt_f16_i16_sdwa v34, sext(v34) dst_sel:DWORD dst_unused:UNUSED_PAD src0_sel:BYTE_0
	v_cvt_f16_i16_sdwa v35, sext(v35) dst_sel:DWORD dst_unused:UNUSED_PAD src0_sel:BYTE_0
	v_pack_b32_f16 v34, v34, v35
	v_lshrrev_b32_e32 v35, 16, v31
	v_cvt_f16_i16_sdwa v31, sext(v31) dst_sel:DWORD dst_unused:UNUSED_PAD src0_sel:BYTE_0
	v_pk_mul_f16 v34, v34, v30
	v_cvt_f16_i16_sdwa v35, sext(v35) dst_sel:DWORD dst_unused:UNUSED_PAD src0_sel:BYTE_0
	v_pk_fma_f16 v232, v34, v32, v232
	v_pack_b32_f16 v31, v31, v35
	v_pk_fma_f16 v233, v34, v36, v233
	v_pk_mul_f16 v30, v31, v30
	v_pk_fma_f16 v32, v30, v32, v234
	v_pk_fma_f16 v36, v30, v36, v231
	v_add_co_u32 v30, vcc_lo, v207, s28
	v_add_co_ci_u32_e64 v31, null, 0, v208, vcc_lo
	v_add_co_u32 v34, vcc_lo, v205, s28
	v_add_co_ci_u32_e64 v35, null, 0, v206, vcc_lo
	global_load_ushort v30, v[30:31], off
	v_mul_u32_u24_sdwa v231, v33, v229 dst_sel:DWORD dst_unused:UNUSED_PAD src0_sel:WORD_0 src1_sel:DWORD
	v_mul_u32_u24_sdwa v234, v37, v229 dst_sel:DWORD dst_unused:UNUSED_PAD src0_sel:WORD_0 src1_sel:DWORD
	global_load_dword v31, v[34:35], off offset:2
	v_mul_u32_u24_sdwa v37, v37, v229 dst_sel:DWORD dst_unused:UNUSED_PAD src0_sel:WORD_1 src1_sel:DWORD
	s_waitcnt vmcnt(1)
	v_mul_u32_u24_e32 v30, 0x10001, v30
	s_waitcnt vmcnt(0)
	v_pk_lshrrev_b16 v34, 8, v31 op_sel:[1,0] op_sel_hi:[0,0]
	v_pk_lshrrev_b16 v31, 8, v31 op_sel:[1,1] op_sel_hi:[0,1]
	v_lshrrev_b32_e32 v35, 16, v34
	v_cvt_f16_i16_sdwa v34, sext(v34) dst_sel:DWORD dst_unused:UNUSED_PAD src0_sel:BYTE_0
	v_cvt_f16_i16_sdwa v35, sext(v35) dst_sel:DWORD dst_unused:UNUSED_PAD src0_sel:BYTE_0
	v_pack_b32_f16 v34, v34, v35
	v_lshrrev_b32_e32 v35, 16, v31
	v_cvt_f16_i16_sdwa v31, sext(v31) dst_sel:DWORD dst_unused:UNUSED_PAD src0_sel:BYTE_0
	v_pk_mul_f16 v34, v34, v30
	v_cvt_f16_i16_sdwa v35, sext(v35) dst_sel:DWORD dst_unused:UNUSED_PAD src0_sel:BYTE_0
	v_pack_b32_f16 v31, v31, v35
	v_pk_fma_f16 v35, v34, v231, v232
	v_mul_u32_u24_sdwa v232, v33, v229 dst_sel:DWORD dst_unused:UNUSED_PAD src0_sel:WORD_1 src1_sel:DWORD
	v_pk_fma_f16 v34, v34, v234, v233
	v_pk_mul_f16 v30, v31, v30
	v_pk_fma_f16 v231, v30, v231, v32
	v_pk_fma_f16 v36, v30, v234, v36
	v_add_co_u32 v30, vcc_lo, v203, s28
	v_add_co_ci_u32_e64 v31, null, 0, v204, vcc_lo
	v_add_co_u32 v32, vcc_lo, v201, s28
	v_add_co_ci_u32_e64 v33, null, 0, v202, vcc_lo
	global_load_ushort v30, v[30:31], off
	global_load_dword v31, v[32:33], off offset:2
	s_waitcnt vmcnt(1)
	v_mul_u32_u24_e32 v30, 0x10001, v30
	s_waitcnt vmcnt(0)
	v_pk_lshrrev_b16 v32, 8, v31 op_sel:[1,0] op_sel_hi:[0,0]
	v_pk_lshrrev_b16 v31, 8, v31 op_sel:[1,1] op_sel_hi:[0,1]
	v_lshrrev_b32_e32 v33, 16, v32
	v_cvt_f16_i16_sdwa v32, sext(v32) dst_sel:DWORD dst_unused:UNUSED_PAD src0_sel:BYTE_0
	v_cvt_f16_i16_sdwa v33, sext(v33) dst_sel:DWORD dst_unused:UNUSED_PAD src0_sel:BYTE_0
	v_pack_b32_f16 v32, v32, v33
	v_lshrrev_b32_e32 v33, 16, v31
	v_cvt_f16_i16_sdwa v31, sext(v31) dst_sel:DWORD dst_unused:UNUSED_PAD src0_sel:BYTE_0
	v_pk_mul_f16 v32, v32, v30
	v_cvt_f16_i16_sdwa v33, sext(v33) dst_sel:DWORD dst_unused:UNUSED_PAD src0_sel:BYTE_0
	v_pk_fma_f16 v234, v32, v37, v34
	v_pack_b32_f16 v31, v31, v33
	v_add_co_u32 v34, vcc_lo, v199, s28
	v_pk_fma_f16 v233, v32, v232, v35
	v_add_co_ci_u32_e64 v35, null, 0, v200, vcc_lo
	v_pk_mul_f16 v30, v31, v30
	global_load_ushort v34, v[34:35], off
	v_pk_fma_f16 v231, v30, v232, v231
	v_pk_fma_f16 v232, v30, v37, v36
	v_add_co_u32 v36, vcc_lo, v197, s28
	v_add_co_ci_u32_e64 v37, null, 0, v198, vcc_lo
	ds_read_b128 v[30:33], v88 offset:272
	global_load_dword v35, v[36:37], off offset:2
	s_waitcnt lgkmcnt(0)
	v_mul_u32_u24_sdwa v236, v30, v229 dst_sel:DWORD dst_unused:UNUSED_PAD src0_sel:WORD_0 src1_sel:DWORD
	v_mul_u32_u24_sdwa v30, v30, v229 dst_sel:DWORD dst_unused:UNUSED_PAD src0_sel:WORD_1 src1_sel:DWORD
	s_waitcnt vmcnt(1)
	v_mul_u32_u24_e32 v34, 0x10001, v34
	s_waitcnt vmcnt(0)
	v_pk_lshrrev_b16 v36, 8, v35 op_sel:[1,0] op_sel_hi:[0,0]
	v_pk_lshrrev_b16 v35, 8, v35 op_sel:[1,1] op_sel_hi:[0,1]
	v_lshrrev_b32_e32 v37, 16, v36
	v_cvt_f16_i16_sdwa v36, sext(v36) dst_sel:DWORD dst_unused:UNUSED_PAD src0_sel:BYTE_0
	v_cvt_f16_i16_sdwa v37, sext(v37) dst_sel:DWORD dst_unused:UNUSED_PAD src0_sel:BYTE_0
	v_pack_b32_f16 v36, v36, v37
	v_lshrrev_b32_e32 v37, 16, v35
	v_cvt_f16_i16_sdwa v35, sext(v35) dst_sel:DWORD dst_unused:UNUSED_PAD src0_sel:BYTE_0
	v_pk_mul_f16 v36, v36, v34
	v_cvt_f16_i16_sdwa v37, sext(v37) dst_sel:DWORD dst_unused:UNUSED_PAD src0_sel:BYTE_0
	v_pk_fma_f16 v233, v36, v235, v233
	v_pack_b32_f16 v35, v35, v37
	v_pk_fma_f16 v234, v36, v236, v234
	v_pk_mul_f16 v34, v35, v34
	v_pk_fma_f16 v231, v34, v235, v231
	v_pk_fma_f16 v232, v34, v236, v232
	v_add_co_u32 v34, vcc_lo, v195, s28
	v_add_co_ci_u32_e64 v35, null, 0, v196, vcc_lo
	v_add_co_u32 v36, vcc_lo, v193, s28
	v_add_co_ci_u32_e64 v37, null, 0, v194, vcc_lo
	global_load_ushort v34, v[34:35], off
	global_load_dword v35, v[36:37], off offset:2
	s_waitcnt vmcnt(1)
	v_mul_u32_u24_e32 v34, 0x10001, v34
	s_waitcnt vmcnt(0)
	v_pk_lshrrev_b16 v36, 8, v35 op_sel:[1,0] op_sel_hi:[0,0]
	v_pk_lshrrev_b16 v35, 8, v35 op_sel:[1,1] op_sel_hi:[0,1]
	v_lshrrev_b32_e32 v37, 16, v36
	v_cvt_f16_i16_sdwa v36, sext(v36) dst_sel:DWORD dst_unused:UNUSED_PAD src0_sel:BYTE_0
	v_cvt_f16_i16_sdwa v37, sext(v37) dst_sel:DWORD dst_unused:UNUSED_PAD src0_sel:BYTE_0
	v_pack_b32_f16 v36, v36, v37
	v_lshrrev_b32_e32 v37, 16, v35
	v_cvt_f16_i16_sdwa v35, sext(v35) dst_sel:DWORD dst_unused:UNUSED_PAD src0_sel:BYTE_0
	v_pk_mul_f16 v36, v36, v34
	v_cvt_f16_i16_sdwa v37, sext(v37) dst_sel:DWORD dst_unused:UNUSED_PAD src0_sel:BYTE_0
	v_pk_fma_f16 v233, v36, v26, v233
	v_pack_b32_f16 v35, v35, v37
	v_pk_fma_f16 v234, v36, v30, v234
	v_pk_mul_f16 v34, v35, v34
	v_pk_fma_f16 v26, v34, v26, v231
	v_pk_fma_f16 v30, v34, v30, v232
	v_add_co_u32 v34, vcc_lo, v191, s28
	v_add_co_ci_u32_e64 v35, null, 0, v192, vcc_lo
	v_add_co_u32 v36, vcc_lo, v189, s28
	v_add_co_ci_u32_e64 v37, null, 0, v190, vcc_lo
	global_load_ushort v34, v[34:35], off
	v_mul_u32_u24_sdwa v231, v27, v229 dst_sel:DWORD dst_unused:UNUSED_PAD src0_sel:WORD_0 src1_sel:DWORD
	v_mul_u32_u24_sdwa v232, v31, v229 dst_sel:DWORD dst_unused:UNUSED_PAD src0_sel:WORD_0 src1_sel:DWORD
	global_load_dword v35, v[36:37], off offset:2
	s_waitcnt vmcnt(1)
	v_mul_u32_u24_e32 v34, 0x10001, v34
	s_waitcnt vmcnt(0)
	v_pk_lshrrev_b16 v36, 8, v35 op_sel:[1,0] op_sel_hi:[0,0]
	v_pk_lshrrev_b16 v35, 8, v35 op_sel:[1,1] op_sel_hi:[0,1]
	v_lshrrev_b32_e32 v37, 16, v36
	v_cvt_f16_i16_sdwa v36, sext(v36) dst_sel:DWORD dst_unused:UNUSED_PAD src0_sel:BYTE_0
	v_cvt_f16_i16_sdwa v37, sext(v37) dst_sel:DWORD dst_unused:UNUSED_PAD src0_sel:BYTE_0
	v_pack_b32_f16 v36, v36, v37
	v_lshrrev_b32_e32 v37, 16, v35
	v_cvt_f16_i16_sdwa v35, sext(v35) dst_sel:DWORD dst_unused:UNUSED_PAD src0_sel:BYTE_0
	v_pk_mul_f16 v36, v36, v34
	v_cvt_f16_i16_sdwa v37, sext(v37) dst_sel:DWORD dst_unused:UNUSED_PAD src0_sel:BYTE_0
	v_pack_b32_f16 v35, v35, v37
	v_pk_mul_f16 v34, v35, v34
	v_pk_fma_f16 v35, v36, v231, v233
	v_pk_fma_f16 v36, v36, v232, v234
	;; [unrolled: 1-line block ×3, first 2 shown]
	v_add_co_u32 v26, vcc_lo, v187, s28
	v_pk_fma_f16 v34, v34, v232, v30
	v_mul_u32_u24_sdwa v231, v27, v229 dst_sel:DWORD dst_unused:UNUSED_PAD src0_sel:WORD_1 src1_sel:DWORD
	v_add_co_ci_u32_e64 v27, null, 0, v188, vcc_lo
	v_add_co_u32 v30, vcc_lo, v185, s28
	v_mul_u32_u24_sdwa v232, v31, v229 dst_sel:DWORD dst_unused:UNUSED_PAD src0_sel:WORD_1 src1_sel:DWORD
	v_add_co_ci_u32_e64 v31, null, 0, v186, vcc_lo
	global_load_ushort v26, v[26:27], off
	global_load_dword v27, v[30:31], off offset:2
	s_waitcnt vmcnt(1)
	v_mul_u32_u24_e32 v26, 0x10001, v26
	s_waitcnt vmcnt(0)
	v_pk_lshrrev_b16 v30, 8, v27 op_sel:[1,0] op_sel_hi:[0,0]
	v_pk_lshrrev_b16 v27, 8, v27 op_sel:[1,1] op_sel_hi:[0,1]
	v_lshrrev_b32_e32 v31, 16, v30
	v_cvt_f16_i16_sdwa v30, sext(v30) dst_sel:DWORD dst_unused:UNUSED_PAD src0_sel:BYTE_0
	v_cvt_f16_i16_sdwa v31, sext(v31) dst_sel:DWORD dst_unused:UNUSED_PAD src0_sel:BYTE_0
	v_pack_b32_f16 v30, v30, v31
	v_lshrrev_b32_e32 v31, 16, v27
	v_cvt_f16_i16_sdwa v27, sext(v27) dst_sel:DWORD dst_unused:UNUSED_PAD src0_sel:BYTE_0
	v_pk_mul_f16 v30, v30, v26
	v_cvt_f16_i16_sdwa v31, sext(v31) dst_sel:DWORD dst_unused:UNUSED_PAD src0_sel:BYTE_0
	v_pk_fma_f16 v35, v30, v231, v35
	v_pack_b32_f16 v27, v27, v31
	v_pk_fma_f16 v36, v30, v232, v36
	v_pk_mul_f16 v26, v27, v26
	v_pk_fma_f16 v37, v26, v231, v37
	v_pk_fma_f16 v34, v26, v232, v34
	v_add_co_u32 v26, vcc_lo, v183, s28
	v_add_co_ci_u32_e64 v27, null, 0, v184, vcc_lo
	v_add_co_u32 v30, vcc_lo, v181, s28
	v_add_co_ci_u32_e64 v31, null, 0, v182, vcc_lo
	global_load_ushort v26, v[26:27], off
	v_mul_u32_u24_sdwa v231, v28, v229 dst_sel:DWORD dst_unused:UNUSED_PAD src0_sel:WORD_0 src1_sel:DWORD
	v_mul_u32_u24_sdwa v232, v32, v229 dst_sel:DWORD dst_unused:UNUSED_PAD src0_sel:WORD_0 src1_sel:DWORD
	global_load_dword v27, v[30:31], off offset:2
	v_mul_u32_u24_sdwa v28, v28, v229 dst_sel:DWORD dst_unused:UNUSED_PAD src0_sel:WORD_1 src1_sel:DWORD
	v_mul_u32_u24_sdwa v32, v32, v229 dst_sel:DWORD dst_unused:UNUSED_PAD src0_sel:WORD_1 src1_sel:DWORD
	s_waitcnt vmcnt(1)
	v_mul_u32_u24_e32 v26, 0x10001, v26
	s_waitcnt vmcnt(0)
	v_pk_lshrrev_b16 v30, 8, v27 op_sel:[1,0] op_sel_hi:[0,0]
	v_pk_lshrrev_b16 v27, 8, v27 op_sel:[1,1] op_sel_hi:[0,1]
	v_lshrrev_b32_e32 v31, 16, v30
	v_cvt_f16_i16_sdwa v30, sext(v30) dst_sel:DWORD dst_unused:UNUSED_PAD src0_sel:BYTE_0
	v_cvt_f16_i16_sdwa v31, sext(v31) dst_sel:DWORD dst_unused:UNUSED_PAD src0_sel:BYTE_0
	v_pack_b32_f16 v30, v30, v31
	v_lshrrev_b32_e32 v31, 16, v27
	v_cvt_f16_i16_sdwa v27, sext(v27) dst_sel:DWORD dst_unused:UNUSED_PAD src0_sel:BYTE_0
	v_pk_mul_f16 v30, v30, v26
	v_cvt_f16_i16_sdwa v31, sext(v31) dst_sel:DWORD dst_unused:UNUSED_PAD src0_sel:BYTE_0
	v_pk_fma_f16 v35, v30, v231, v35
	v_pack_b32_f16 v27, v27, v31
	v_pk_fma_f16 v36, v30, v232, v36
	v_pk_mul_f16 v26, v27, v26
	v_pk_fma_f16 v37, v26, v231, v37
	v_pk_fma_f16 v34, v26, v232, v34
	v_add_co_u32 v26, vcc_lo, v179, s28
	v_add_co_ci_u32_e64 v27, null, 0, v180, vcc_lo
	v_add_co_u32 v30, vcc_lo, v177, s28
	v_add_co_ci_u32_e64 v31, null, 0, v178, vcc_lo
	global_load_ushort v26, v[26:27], off
	v_mul_u32_u24_sdwa v231, v22, v229 dst_sel:DWORD dst_unused:UNUSED_PAD src0_sel:WORD_0 src1_sel:DWORD
	v_mul_u32_u24_sdwa v22, v22, v229 dst_sel:DWORD dst_unused:UNUSED_PAD src0_sel:WORD_1 src1_sel:DWORD
	global_load_dword v27, v[30:31], off offset:2
	s_waitcnt vmcnt(1)
	v_mul_u32_u24_e32 v26, 0x10001, v26
	s_waitcnt vmcnt(0)
	v_pk_lshrrev_b16 v30, 8, v27 op_sel:[1,0] op_sel_hi:[0,0]
	v_pk_lshrrev_b16 v27, 8, v27 op_sel:[1,1] op_sel_hi:[0,1]
	v_lshrrev_b32_e32 v31, 16, v30
	v_cvt_f16_i16_sdwa v30, sext(v30) dst_sel:DWORD dst_unused:UNUSED_PAD src0_sel:BYTE_0
	v_cvt_f16_i16_sdwa v31, sext(v31) dst_sel:DWORD dst_unused:UNUSED_PAD src0_sel:BYTE_0
	v_pack_b32_f16 v30, v30, v31
	v_lshrrev_b32_e32 v31, 16, v27
	v_cvt_f16_i16_sdwa v27, sext(v27) dst_sel:DWORD dst_unused:UNUSED_PAD src0_sel:BYTE_0
	v_pk_mul_f16 v30, v30, v26
	v_cvt_f16_i16_sdwa v31, sext(v31) dst_sel:DWORD dst_unused:UNUSED_PAD src0_sel:BYTE_0
	v_pk_fma_f16 v35, v30, v28, v35
	v_pack_b32_f16 v27, v27, v31
	v_pk_fma_f16 v36, v30, v32, v36
	v_pk_mul_f16 v26, v27, v26
	v_pk_fma_f16 v28, v26, v28, v37
	v_pk_fma_f16 v32, v26, v32, v34
	v_add_co_u32 v26, vcc_lo, v175, s28
	v_add_co_ci_u32_e64 v27, null, 0, v176, vcc_lo
	v_add_co_u32 v30, vcc_lo, v173, s28
	v_add_co_ci_u32_e64 v31, null, 0, v174, vcc_lo
	global_load_ushort v26, v[26:27], off
	v_mul_u32_u24_sdwa v34, v29, v229 dst_sel:DWORD dst_unused:UNUSED_PAD src0_sel:WORD_0 src1_sel:DWORD
	v_mul_u32_u24_sdwa v37, v33, v229 dst_sel:DWORD dst_unused:UNUSED_PAD src0_sel:WORD_0 src1_sel:DWORD
	global_load_dword v27, v[30:31], off offset:2
	v_mul_u32_u24_sdwa v33, v33, v229 dst_sel:DWORD dst_unused:UNUSED_PAD src0_sel:WORD_1 src1_sel:DWORD
	s_waitcnt vmcnt(1)
	v_mul_u32_u24_e32 v26, 0x10001, v26
	s_waitcnt vmcnt(0)
	v_pk_lshrrev_b16 v30, 8, v27 op_sel:[1,0] op_sel_hi:[0,0]
	v_pk_lshrrev_b16 v27, 8, v27 op_sel:[1,1] op_sel_hi:[0,1]
	v_lshrrev_b32_e32 v31, 16, v30
	v_cvt_f16_i16_sdwa v30, sext(v30) dst_sel:DWORD dst_unused:UNUSED_PAD src0_sel:BYTE_0
	v_cvt_f16_i16_sdwa v31, sext(v31) dst_sel:DWORD dst_unused:UNUSED_PAD src0_sel:BYTE_0
	v_pack_b32_f16 v30, v30, v31
	v_lshrrev_b32_e32 v31, 16, v27
	v_cvt_f16_i16_sdwa v27, sext(v27) dst_sel:DWORD dst_unused:UNUSED_PAD src0_sel:BYTE_0
	v_pk_mul_f16 v30, v30, v26
	v_cvt_f16_i16_sdwa v31, sext(v31) dst_sel:DWORD dst_unused:UNUSED_PAD src0_sel:BYTE_0
	v_pack_b32_f16 v27, v27, v31
	v_pk_fma_f16 v31, v30, v34, v35
	v_mul_u32_u24_sdwa v35, v29, v229 dst_sel:DWORD dst_unused:UNUSED_PAD src0_sel:WORD_1 src1_sel:DWORD
	v_pk_fma_f16 v30, v30, v37, v36
	v_pk_mul_f16 v26, v27, v26
	v_pk_fma_f16 v34, v26, v34, v28
	v_pk_fma_f16 v32, v26, v37, v32
	v_add_co_u32 v26, vcc_lo, v171, s28
	v_add_co_ci_u32_e64 v27, null, 0, v172, vcc_lo
	v_add_co_u32 v28, vcc_lo, v169, s28
	v_add_co_ci_u32_e64 v29, null, 0, v170, vcc_lo
	global_load_ushort v26, v[26:27], off
	global_load_dword v27, v[28:29], off offset:2
	s_waitcnt vmcnt(1)
	v_mul_u32_u24_e32 v26, 0x10001, v26
	s_waitcnt vmcnt(0)
	v_pk_lshrrev_b16 v28, 8, v27 op_sel:[1,0] op_sel_hi:[0,0]
	v_pk_lshrrev_b16 v27, 8, v27 op_sel:[1,1] op_sel_hi:[0,1]
	v_lshrrev_b32_e32 v29, 16, v28
	v_cvt_f16_i16_sdwa v28, sext(v28) dst_sel:DWORD dst_unused:UNUSED_PAD src0_sel:BYTE_0
	v_cvt_f16_i16_sdwa v29, sext(v29) dst_sel:DWORD dst_unused:UNUSED_PAD src0_sel:BYTE_0
	v_pack_b32_f16 v28, v28, v29
	v_lshrrev_b32_e32 v29, 16, v27
	v_cvt_f16_i16_sdwa v27, sext(v27) dst_sel:DWORD dst_unused:UNUSED_PAD src0_sel:BYTE_0
	v_pk_mul_f16 v28, v28, v26
	v_cvt_f16_i16_sdwa v29, sext(v29) dst_sel:DWORD dst_unused:UNUSED_PAD src0_sel:BYTE_0
	v_pk_fma_f16 v37, v28, v33, v30
	v_pack_b32_f16 v27, v27, v29
	v_add_co_u32 v30, vcc_lo, v167, s28
	v_pk_fma_f16 v36, v28, v35, v31
	v_add_co_ci_u32_e64 v31, null, 0, v168, vcc_lo
	v_pk_mul_f16 v26, v27, v26
	global_load_ushort v30, v[30:31], off
	v_pk_fma_f16 v34, v26, v35, v34
	v_pk_fma_f16 v35, v26, v33, v32
	v_add_co_u32 v32, vcc_lo, v165, s28
	v_add_co_ci_u32_e64 v33, null, 0, v166, vcc_lo
	ds_read_b128 v[26:29], v88 offset:288
	global_load_dword v31, v[32:33], off offset:2
	s_waitcnt lgkmcnt(0)
	v_mul_u32_u24_sdwa v232, v26, v229 dst_sel:DWORD dst_unused:UNUSED_PAD src0_sel:WORD_0 src1_sel:DWORD
	v_mul_u32_u24_sdwa v26, v26, v229 dst_sel:DWORD dst_unused:UNUSED_PAD src0_sel:WORD_1 src1_sel:DWORD
	s_waitcnt vmcnt(1)
	v_mul_u32_u24_e32 v30, 0x10001, v30
	s_waitcnt vmcnt(0)
	v_pk_lshrrev_b16 v32, 8, v31 op_sel:[1,0] op_sel_hi:[0,0]
	v_pk_lshrrev_b16 v31, 8, v31 op_sel:[1,1] op_sel_hi:[0,1]
	v_lshrrev_b32_e32 v33, 16, v32
	v_cvt_f16_i16_sdwa v32, sext(v32) dst_sel:DWORD dst_unused:UNUSED_PAD src0_sel:BYTE_0
	v_cvt_f16_i16_sdwa v33, sext(v33) dst_sel:DWORD dst_unused:UNUSED_PAD src0_sel:BYTE_0
	v_pack_b32_f16 v32, v32, v33
	v_lshrrev_b32_e32 v33, 16, v31
	v_cvt_f16_i16_sdwa v31, sext(v31) dst_sel:DWORD dst_unused:UNUSED_PAD src0_sel:BYTE_0
	v_pk_mul_f16 v32, v32, v30
	v_cvt_f16_i16_sdwa v33, sext(v33) dst_sel:DWORD dst_unused:UNUSED_PAD src0_sel:BYTE_0
	v_pk_fma_f16 v36, v32, v231, v36
	v_pack_b32_f16 v31, v31, v33
	v_pk_fma_f16 v37, v32, v232, v37
	v_pk_mul_f16 v30, v31, v30
	v_pk_fma_f16 v34, v30, v231, v34
	v_pk_fma_f16 v35, v30, v232, v35
	v_add_co_u32 v30, vcc_lo, v163, s28
	v_add_co_ci_u32_e64 v31, null, 0, v164, vcc_lo
	v_add_co_u32 v32, vcc_lo, v161, s28
	v_add_co_ci_u32_e64 v33, null, 0, v162, vcc_lo
	global_load_ushort v30, v[30:31], off
	global_load_dword v31, v[32:33], off offset:2
	s_waitcnt vmcnt(1)
	v_mul_u32_u24_e32 v30, 0x10001, v30
	s_waitcnt vmcnt(0)
	v_pk_lshrrev_b16 v32, 8, v31 op_sel:[1,0] op_sel_hi:[0,0]
	v_pk_lshrrev_b16 v31, 8, v31 op_sel:[1,1] op_sel_hi:[0,1]
	v_lshrrev_b32_e32 v33, 16, v32
	v_cvt_f16_i16_sdwa v32, sext(v32) dst_sel:DWORD dst_unused:UNUSED_PAD src0_sel:BYTE_0
	v_cvt_f16_i16_sdwa v33, sext(v33) dst_sel:DWORD dst_unused:UNUSED_PAD src0_sel:BYTE_0
	v_pack_b32_f16 v32, v32, v33
	v_lshrrev_b32_e32 v33, 16, v31
	v_cvt_f16_i16_sdwa v31, sext(v31) dst_sel:DWORD dst_unused:UNUSED_PAD src0_sel:BYTE_0
	v_pk_mul_f16 v32, v32, v30
	v_cvt_f16_i16_sdwa v33, sext(v33) dst_sel:DWORD dst_unused:UNUSED_PAD src0_sel:BYTE_0
	v_pk_fma_f16 v36, v32, v22, v36
	v_pack_b32_f16 v31, v31, v33
	v_pk_fma_f16 v37, v32, v26, v37
	v_pk_mul_f16 v30, v31, v30
	v_pk_fma_f16 v22, v30, v22, v34
	v_pk_fma_f16 v26, v30, v26, v35
	v_add_co_u32 v30, vcc_lo, v159, s28
	v_add_co_ci_u32_e64 v31, null, 0, v160, vcc_lo
	v_add_co_u32 v32, vcc_lo, v157, s28
	v_add_co_ci_u32_e64 v33, null, 0, v158, vcc_lo
	global_load_ushort v30, v[30:31], off
	v_mul_u32_u24_sdwa v34, v23, v229 dst_sel:DWORD dst_unused:UNUSED_PAD src0_sel:WORD_0 src1_sel:DWORD
	v_mul_u32_u24_sdwa v35, v27, v229 dst_sel:DWORD dst_unused:UNUSED_PAD src0_sel:WORD_0 src1_sel:DWORD
	global_load_dword v31, v[32:33], off offset:2
	s_waitcnt vmcnt(1)
	v_mul_u32_u24_e32 v30, 0x10001, v30
	s_waitcnt vmcnt(0)
	v_pk_lshrrev_b16 v32, 8, v31 op_sel:[1,0] op_sel_hi:[0,0]
	v_pk_lshrrev_b16 v31, 8, v31 op_sel:[1,1] op_sel_hi:[0,1]
	v_lshrrev_b32_e32 v33, 16, v32
	v_cvt_f16_i16_sdwa v32, sext(v32) dst_sel:DWORD dst_unused:UNUSED_PAD src0_sel:BYTE_0
	v_cvt_f16_i16_sdwa v33, sext(v33) dst_sel:DWORD dst_unused:UNUSED_PAD src0_sel:BYTE_0
	v_pack_b32_f16 v32, v32, v33
	v_lshrrev_b32_e32 v33, 16, v31
	v_cvt_f16_i16_sdwa v31, sext(v31) dst_sel:DWORD dst_unused:UNUSED_PAD src0_sel:BYTE_0
	v_pk_mul_f16 v32, v32, v30
	v_cvt_f16_i16_sdwa v33, sext(v33) dst_sel:DWORD dst_unused:UNUSED_PAD src0_sel:BYTE_0
	v_pack_b32_f16 v31, v31, v33
	v_pk_mul_f16 v30, v31, v30
	v_pk_fma_f16 v31, v32, v34, v36
	v_pk_fma_f16 v32, v32, v35, v37
	v_pk_fma_f16 v33, v30, v34, v22
	v_add_co_u32 v22, vcc_lo, v155, s28
	v_pk_fma_f16 v30, v30, v35, v26
	v_mul_u32_u24_sdwa v34, v23, v229 dst_sel:DWORD dst_unused:UNUSED_PAD src0_sel:WORD_1 src1_sel:DWORD
	v_add_co_ci_u32_e64 v23, null, 0, v156, vcc_lo
	v_add_co_u32 v26, vcc_lo, v153, s28
	v_mul_u32_u24_sdwa v35, v27, v229 dst_sel:DWORD dst_unused:UNUSED_PAD src0_sel:WORD_1 src1_sel:DWORD
	v_add_co_ci_u32_e64 v27, null, 0, v154, vcc_lo
	global_load_ushort v22, v[22:23], off
	global_load_dword v23, v[26:27], off offset:2
	s_waitcnt vmcnt(1)
	v_mul_u32_u24_e32 v22, 0x10001, v22
	s_waitcnt vmcnt(0)
	v_pk_lshrrev_b16 v26, 8, v23 op_sel:[1,0] op_sel_hi:[0,0]
	v_pk_lshrrev_b16 v23, 8, v23 op_sel:[1,1] op_sel_hi:[0,1]
	v_lshrrev_b32_e32 v27, 16, v26
	v_cvt_f16_i16_sdwa v26, sext(v26) dst_sel:DWORD dst_unused:UNUSED_PAD src0_sel:BYTE_0
	v_cvt_f16_i16_sdwa v27, sext(v27) dst_sel:DWORD dst_unused:UNUSED_PAD src0_sel:BYTE_0
	v_pack_b32_f16 v26, v26, v27
	v_lshrrev_b32_e32 v27, 16, v23
	v_cvt_f16_i16_sdwa v23, sext(v23) dst_sel:DWORD dst_unused:UNUSED_PAD src0_sel:BYTE_0
	v_pk_mul_f16 v26, v26, v22
	v_cvt_f16_i16_sdwa v27, sext(v27) dst_sel:DWORD dst_unused:UNUSED_PAD src0_sel:BYTE_0
	v_pk_fma_f16 v31, v26, v34, v31
	v_pack_b32_f16 v23, v23, v27
	v_pk_fma_f16 v32, v26, v35, v32
	v_pk_mul_f16 v22, v23, v22
	v_pk_fma_f16 v33, v22, v34, v33
	v_pk_fma_f16 v30, v22, v35, v30
	v_add_co_u32 v22, vcc_lo, v151, s28
	v_add_co_ci_u32_e64 v23, null, 0, v152, vcc_lo
	v_add_co_u32 v26, vcc_lo, v149, s28
	v_add_co_ci_u32_e64 v27, null, 0, v150, vcc_lo
	global_load_ushort v22, v[22:23], off
	v_mul_u32_u24_sdwa v34, v24, v229 dst_sel:DWORD dst_unused:UNUSED_PAD src0_sel:WORD_0 src1_sel:DWORD
	v_mul_u32_u24_sdwa v35, v28, v229 dst_sel:DWORD dst_unused:UNUSED_PAD src0_sel:WORD_0 src1_sel:DWORD
	global_load_dword v23, v[26:27], off offset:2
	v_mul_u32_u24_sdwa v24, v24, v229 dst_sel:DWORD dst_unused:UNUSED_PAD src0_sel:WORD_1 src1_sel:DWORD
	v_mul_u32_u24_sdwa v28, v28, v229 dst_sel:DWORD dst_unused:UNUSED_PAD src0_sel:WORD_1 src1_sel:DWORD
	s_waitcnt vmcnt(1)
	v_mul_u32_u24_e32 v22, 0x10001, v22
	s_waitcnt vmcnt(0)
	v_pk_lshrrev_b16 v26, 8, v23 op_sel:[1,0] op_sel_hi:[0,0]
	v_pk_lshrrev_b16 v23, 8, v23 op_sel:[1,1] op_sel_hi:[0,1]
	v_lshrrev_b32_e32 v27, 16, v26
	v_cvt_f16_i16_sdwa v26, sext(v26) dst_sel:DWORD dst_unused:UNUSED_PAD src0_sel:BYTE_0
	v_cvt_f16_i16_sdwa v27, sext(v27) dst_sel:DWORD dst_unused:UNUSED_PAD src0_sel:BYTE_0
	v_pack_b32_f16 v26, v26, v27
	v_lshrrev_b32_e32 v27, 16, v23
	v_cvt_f16_i16_sdwa v23, sext(v23) dst_sel:DWORD dst_unused:UNUSED_PAD src0_sel:BYTE_0
	v_pk_mul_f16 v26, v26, v22
	v_cvt_f16_i16_sdwa v27, sext(v27) dst_sel:DWORD dst_unused:UNUSED_PAD src0_sel:BYTE_0
	v_pk_fma_f16 v31, v26, v34, v31
	v_pack_b32_f16 v23, v23, v27
	v_pk_fma_f16 v32, v26, v35, v32
	v_pk_mul_f16 v22, v23, v22
	v_pk_fma_f16 v33, v22, v34, v33
	v_pk_fma_f16 v30, v22, v35, v30
	v_add_co_u32 v22, vcc_lo, v147, s28
	v_add_co_ci_u32_e64 v23, null, 0, v148, vcc_lo
	v_add_co_u32 v26, vcc_lo, v145, s28
	v_add_co_ci_u32_e64 v27, null, 0, v146, vcc_lo
	global_load_ushort v22, v[22:23], off
	v_mul_u32_u24_sdwa v34, v18, v229 dst_sel:DWORD dst_unused:UNUSED_PAD src0_sel:WORD_0 src1_sel:DWORD
	v_mul_u32_u24_sdwa v18, v18, v229 dst_sel:DWORD dst_unused:UNUSED_PAD src0_sel:WORD_1 src1_sel:DWORD
	global_load_dword v23, v[26:27], off offset:2
	s_waitcnt vmcnt(1)
	v_mul_u32_u24_e32 v22, 0x10001, v22
	s_waitcnt vmcnt(0)
	v_pk_lshrrev_b16 v26, 8, v23 op_sel:[1,0] op_sel_hi:[0,0]
	v_pk_lshrrev_b16 v23, 8, v23 op_sel:[1,1] op_sel_hi:[0,1]
	v_lshrrev_b32_e32 v27, 16, v26
	v_cvt_f16_i16_sdwa v26, sext(v26) dst_sel:DWORD dst_unused:UNUSED_PAD src0_sel:BYTE_0
	v_cvt_f16_i16_sdwa v27, sext(v27) dst_sel:DWORD dst_unused:UNUSED_PAD src0_sel:BYTE_0
	v_pack_b32_f16 v26, v26, v27
	v_lshrrev_b32_e32 v27, 16, v23
	v_cvt_f16_i16_sdwa v23, sext(v23) dst_sel:DWORD dst_unused:UNUSED_PAD src0_sel:BYTE_0
	v_pk_mul_f16 v26, v26, v22
	v_cvt_f16_i16_sdwa v27, sext(v27) dst_sel:DWORD dst_unused:UNUSED_PAD src0_sel:BYTE_0
	v_pk_fma_f16 v31, v26, v24, v31
	v_pack_b32_f16 v23, v23, v27
	v_pk_fma_f16 v32, v26, v28, v32
	v_pk_mul_f16 v22, v23, v22
	v_pk_fma_f16 v24, v22, v24, v33
	v_pk_fma_f16 v28, v22, v28, v30
	v_add_co_u32 v22, vcc_lo, v143, s28
	v_add_co_ci_u32_e64 v23, null, 0, v144, vcc_lo
	v_add_co_u32 v26, vcc_lo, v141, s28
	v_add_co_ci_u32_e64 v27, null, 0, v142, vcc_lo
	global_load_ushort v22, v[22:23], off
	v_mul_u32_u24_sdwa v30, v25, v229 dst_sel:DWORD dst_unused:UNUSED_PAD src0_sel:WORD_0 src1_sel:DWORD
	v_mul_u32_u24_sdwa v33, v29, v229 dst_sel:DWORD dst_unused:UNUSED_PAD src0_sel:WORD_0 src1_sel:DWORD
	global_load_dword v23, v[26:27], off offset:2
	v_mul_u32_u24_sdwa v29, v29, v229 dst_sel:DWORD dst_unused:UNUSED_PAD src0_sel:WORD_1 src1_sel:DWORD
	s_waitcnt vmcnt(1)
	v_mul_u32_u24_e32 v22, 0x10001, v22
	s_waitcnt vmcnt(0)
	v_pk_lshrrev_b16 v26, 8, v23 op_sel:[1,0] op_sel_hi:[0,0]
	v_pk_lshrrev_b16 v23, 8, v23 op_sel:[1,1] op_sel_hi:[0,1]
	v_lshrrev_b32_e32 v27, 16, v26
	v_cvt_f16_i16_sdwa v26, sext(v26) dst_sel:DWORD dst_unused:UNUSED_PAD src0_sel:BYTE_0
	v_cvt_f16_i16_sdwa v27, sext(v27) dst_sel:DWORD dst_unused:UNUSED_PAD src0_sel:BYTE_0
	v_pack_b32_f16 v26, v26, v27
	v_lshrrev_b32_e32 v27, 16, v23
	v_cvt_f16_i16_sdwa v23, sext(v23) dst_sel:DWORD dst_unused:UNUSED_PAD src0_sel:BYTE_0
	v_pk_mul_f16 v26, v26, v22
	v_cvt_f16_i16_sdwa v27, sext(v27) dst_sel:DWORD dst_unused:UNUSED_PAD src0_sel:BYTE_0
	v_pack_b32_f16 v23, v23, v27
	v_pk_fma_f16 v27, v26, v30, v31
	v_mul_u32_u24_sdwa v31, v25, v229 dst_sel:DWORD dst_unused:UNUSED_PAD src0_sel:WORD_1 src1_sel:DWORD
	v_pk_fma_f16 v26, v26, v33, v32
	v_pk_mul_f16 v22, v23, v22
	v_pk_fma_f16 v30, v22, v30, v24
	v_pk_fma_f16 v28, v22, v33, v28
	v_add_co_u32 v22, vcc_lo, v139, s28
	v_add_co_ci_u32_e64 v23, null, 0, v140, vcc_lo
	v_add_co_u32 v24, vcc_lo, v137, s28
	v_add_co_ci_u32_e64 v25, null, 0, v138, vcc_lo
	global_load_ushort v22, v[22:23], off
	global_load_dword v23, v[24:25], off offset:2
	s_waitcnt vmcnt(1)
	v_mul_u32_u24_e32 v22, 0x10001, v22
	s_waitcnt vmcnt(0)
	v_pk_lshrrev_b16 v24, 8, v23 op_sel:[1,0] op_sel_hi:[0,0]
	v_pk_lshrrev_b16 v23, 8, v23 op_sel:[1,1] op_sel_hi:[0,1]
	v_lshrrev_b32_e32 v25, 16, v24
	v_cvt_f16_i16_sdwa v24, sext(v24) dst_sel:DWORD dst_unused:UNUSED_PAD src0_sel:BYTE_0
	v_cvt_f16_i16_sdwa v25, sext(v25) dst_sel:DWORD dst_unused:UNUSED_PAD src0_sel:BYTE_0
	v_pack_b32_f16 v24, v24, v25
	v_lshrrev_b32_e32 v25, 16, v23
	v_cvt_f16_i16_sdwa v23, sext(v23) dst_sel:DWORD dst_unused:UNUSED_PAD src0_sel:BYTE_0
	v_pk_mul_f16 v24, v24, v22
	v_cvt_f16_i16_sdwa v25, sext(v25) dst_sel:DWORD dst_unused:UNUSED_PAD src0_sel:BYTE_0
	v_pk_fma_f16 v33, v24, v29, v26
	v_pack_b32_f16 v23, v23, v25
	v_add_co_u32 v26, vcc_lo, v135, s28
	v_pk_fma_f16 v32, v24, v31, v27
	v_add_co_ci_u32_e64 v27, null, 0, v136, vcc_lo
	v_pk_mul_f16 v22, v23, v22
	global_load_ushort v26, v[26:27], off
	v_pk_fma_f16 v30, v22, v31, v30
	v_pk_fma_f16 v31, v22, v29, v28
	v_add_co_u32 v28, vcc_lo, v133, s28
	v_add_co_ci_u32_e64 v29, null, 0, v134, vcc_lo
	ds_read_b128 v[22:25], v88 offset:304
	global_load_dword v27, v[28:29], off offset:2
	s_waitcnt lgkmcnt(0)
	v_mul_u32_u24_sdwa v35, v22, v229 dst_sel:DWORD dst_unused:UNUSED_PAD src0_sel:WORD_0 src1_sel:DWORD
	v_mul_u32_u24_sdwa v22, v22, v229 dst_sel:DWORD dst_unused:UNUSED_PAD src0_sel:WORD_1 src1_sel:DWORD
	s_waitcnt vmcnt(1)
	v_mul_u32_u24_e32 v26, 0x10001, v26
	s_waitcnt vmcnt(0)
	v_pk_lshrrev_b16 v28, 8, v27 op_sel:[1,0] op_sel_hi:[0,0]
	v_pk_lshrrev_b16 v27, 8, v27 op_sel:[1,1] op_sel_hi:[0,1]
	v_lshrrev_b32_e32 v29, 16, v28
	v_cvt_f16_i16_sdwa v28, sext(v28) dst_sel:DWORD dst_unused:UNUSED_PAD src0_sel:BYTE_0
	v_cvt_f16_i16_sdwa v29, sext(v29) dst_sel:DWORD dst_unused:UNUSED_PAD src0_sel:BYTE_0
	v_pack_b32_f16 v28, v28, v29
	v_lshrrev_b32_e32 v29, 16, v27
	v_cvt_f16_i16_sdwa v27, sext(v27) dst_sel:DWORD dst_unused:UNUSED_PAD src0_sel:BYTE_0
	v_pk_mul_f16 v28, v28, v26
	v_cvt_f16_i16_sdwa v29, sext(v29) dst_sel:DWORD dst_unused:UNUSED_PAD src0_sel:BYTE_0
	v_pk_fma_f16 v32, v28, v34, v32
	v_pack_b32_f16 v27, v27, v29
	v_pk_fma_f16 v33, v28, v35, v33
	v_pk_mul_f16 v26, v27, v26
	v_pk_fma_f16 v30, v26, v34, v30
	v_pk_fma_f16 v31, v26, v35, v31
	v_add_co_u32 v26, vcc_lo, v131, s28
	v_add_co_ci_u32_e64 v27, null, 0, v132, vcc_lo
	v_add_co_u32 v28, vcc_lo, v129, s28
	v_add_co_ci_u32_e64 v29, null, 0, v130, vcc_lo
	global_load_ushort v26, v[26:27], off
	global_load_dword v27, v[28:29], off offset:2
	s_waitcnt vmcnt(1)
	v_mul_u32_u24_e32 v26, 0x10001, v26
	s_waitcnt vmcnt(0)
	v_pk_lshrrev_b16 v28, 8, v27 op_sel:[1,0] op_sel_hi:[0,0]
	v_pk_lshrrev_b16 v27, 8, v27 op_sel:[1,1] op_sel_hi:[0,1]
	v_lshrrev_b32_e32 v29, 16, v28
	v_cvt_f16_i16_sdwa v28, sext(v28) dst_sel:DWORD dst_unused:UNUSED_PAD src0_sel:BYTE_0
	v_cvt_f16_i16_sdwa v29, sext(v29) dst_sel:DWORD dst_unused:UNUSED_PAD src0_sel:BYTE_0
	v_pack_b32_f16 v28, v28, v29
	v_lshrrev_b32_e32 v29, 16, v27
	v_cvt_f16_i16_sdwa v27, sext(v27) dst_sel:DWORD dst_unused:UNUSED_PAD src0_sel:BYTE_0
	v_pk_mul_f16 v28, v28, v26
	v_cvt_f16_i16_sdwa v29, sext(v29) dst_sel:DWORD dst_unused:UNUSED_PAD src0_sel:BYTE_0
	v_pk_fma_f16 v32, v28, v18, v32
	v_pack_b32_f16 v27, v27, v29
	v_pk_fma_f16 v33, v28, v22, v33
	v_pk_mul_f16 v26, v27, v26
	v_pk_fma_f16 v18, v26, v18, v30
	v_pk_fma_f16 v22, v26, v22, v31
	v_add_co_u32 v26, vcc_lo, v127, s28
	v_add_co_ci_u32_e64 v27, null, 0, v128, vcc_lo
	v_add_co_u32 v28, vcc_lo, v125, s28
	v_add_co_ci_u32_e64 v29, null, 0, v126, vcc_lo
	global_load_ushort v26, v[26:27], off
	v_mul_u32_u24_sdwa v30, v19, v229 dst_sel:DWORD dst_unused:UNUSED_PAD src0_sel:WORD_0 src1_sel:DWORD
	v_mul_u32_u24_sdwa v31, v23, v229 dst_sel:DWORD dst_unused:UNUSED_PAD src0_sel:WORD_0 src1_sel:DWORD
	global_load_dword v27, v[28:29], off offset:2
	s_waitcnt vmcnt(1)
	v_mul_u32_u24_e32 v26, 0x10001, v26
	s_waitcnt vmcnt(0)
	v_pk_lshrrev_b16 v28, 8, v27 op_sel:[1,0] op_sel_hi:[0,0]
	v_pk_lshrrev_b16 v27, 8, v27 op_sel:[1,1] op_sel_hi:[0,1]
	v_lshrrev_b32_e32 v29, 16, v28
	v_cvt_f16_i16_sdwa v28, sext(v28) dst_sel:DWORD dst_unused:UNUSED_PAD src0_sel:BYTE_0
	v_cvt_f16_i16_sdwa v29, sext(v29) dst_sel:DWORD dst_unused:UNUSED_PAD src0_sel:BYTE_0
	v_pack_b32_f16 v28, v28, v29
	v_lshrrev_b32_e32 v29, 16, v27
	v_cvt_f16_i16_sdwa v27, sext(v27) dst_sel:DWORD dst_unused:UNUSED_PAD src0_sel:BYTE_0
	v_pk_mul_f16 v28, v28, v26
	v_cvt_f16_i16_sdwa v29, sext(v29) dst_sel:DWORD dst_unused:UNUSED_PAD src0_sel:BYTE_0
	v_pack_b32_f16 v27, v27, v29
	v_pk_mul_f16 v26, v27, v26
	v_pk_fma_f16 v27, v28, v30, v32
	v_pk_fma_f16 v28, v28, v31, v33
	;; [unrolled: 1-line block ×3, first 2 shown]
	v_add_co_u32 v18, vcc_lo, v123, s28
	v_pk_fma_f16 v26, v26, v31, v22
	v_mul_u32_u24_sdwa v30, v19, v229 dst_sel:DWORD dst_unused:UNUSED_PAD src0_sel:WORD_1 src1_sel:DWORD
	v_add_co_ci_u32_e64 v19, null, 0, v124, vcc_lo
	v_add_co_u32 v22, vcc_lo, v121, s28
	v_mul_u32_u24_sdwa v31, v23, v229 dst_sel:DWORD dst_unused:UNUSED_PAD src0_sel:WORD_1 src1_sel:DWORD
	v_add_co_ci_u32_e64 v23, null, 0, v122, vcc_lo
	global_load_ushort v18, v[18:19], off
	global_load_dword v19, v[22:23], off offset:2
	s_waitcnt vmcnt(1)
	v_mul_u32_u24_e32 v18, 0x10001, v18
	s_waitcnt vmcnt(0)
	v_pk_lshrrev_b16 v22, 8, v19 op_sel:[1,0] op_sel_hi:[0,0]
	v_pk_lshrrev_b16 v19, 8, v19 op_sel:[1,1] op_sel_hi:[0,1]
	v_lshrrev_b32_e32 v23, 16, v22
	v_cvt_f16_i16_sdwa v22, sext(v22) dst_sel:DWORD dst_unused:UNUSED_PAD src0_sel:BYTE_0
	v_cvt_f16_i16_sdwa v23, sext(v23) dst_sel:DWORD dst_unused:UNUSED_PAD src0_sel:BYTE_0
	v_pack_b32_f16 v22, v22, v23
	v_lshrrev_b32_e32 v23, 16, v19
	v_cvt_f16_i16_sdwa v19, sext(v19) dst_sel:DWORD dst_unused:UNUSED_PAD src0_sel:BYTE_0
	v_pk_mul_f16 v22, v22, v18
	v_cvt_f16_i16_sdwa v23, sext(v23) dst_sel:DWORD dst_unused:UNUSED_PAD src0_sel:BYTE_0
	v_pk_fma_f16 v27, v22, v30, v27
	v_pack_b32_f16 v19, v19, v23
	v_pk_fma_f16 v28, v22, v31, v28
	v_pk_mul_f16 v18, v19, v18
	v_pk_fma_f16 v29, v18, v30, v29
	v_pk_fma_f16 v26, v18, v31, v26
	v_add_co_u32 v18, vcc_lo, v119, s28
	v_add_co_ci_u32_e64 v19, null, 0, v120, vcc_lo
	v_add_co_u32 v22, vcc_lo, v117, s28
	v_add_co_ci_u32_e64 v23, null, 0, v118, vcc_lo
	global_load_ushort v18, v[18:19], off
	v_mul_u32_u24_sdwa v30, v20, v229 dst_sel:DWORD dst_unused:UNUSED_PAD src0_sel:WORD_0 src1_sel:DWORD
	v_mul_u32_u24_sdwa v31, v24, v229 dst_sel:DWORD dst_unused:UNUSED_PAD src0_sel:WORD_0 src1_sel:DWORD
	global_load_dword v19, v[22:23], off offset:2
	v_mul_u32_u24_sdwa v20, v20, v229 dst_sel:DWORD dst_unused:UNUSED_PAD src0_sel:WORD_1 src1_sel:DWORD
	v_mul_u32_u24_sdwa v24, v24, v229 dst_sel:DWORD dst_unused:UNUSED_PAD src0_sel:WORD_1 src1_sel:DWORD
	s_waitcnt vmcnt(1)
	v_mul_u32_u24_e32 v18, 0x10001, v18
	s_waitcnt vmcnt(0)
	v_pk_lshrrev_b16 v22, 8, v19 op_sel:[1,0] op_sel_hi:[0,0]
	v_pk_lshrrev_b16 v19, 8, v19 op_sel:[1,1] op_sel_hi:[0,1]
	v_lshrrev_b32_e32 v23, 16, v22
	v_cvt_f16_i16_sdwa v22, sext(v22) dst_sel:DWORD dst_unused:UNUSED_PAD src0_sel:BYTE_0
	v_cvt_f16_i16_sdwa v23, sext(v23) dst_sel:DWORD dst_unused:UNUSED_PAD src0_sel:BYTE_0
	v_pack_b32_f16 v22, v22, v23
	v_lshrrev_b32_e32 v23, 16, v19
	v_cvt_f16_i16_sdwa v19, sext(v19) dst_sel:DWORD dst_unused:UNUSED_PAD src0_sel:BYTE_0
	v_pk_mul_f16 v22, v22, v18
	v_cvt_f16_i16_sdwa v23, sext(v23) dst_sel:DWORD dst_unused:UNUSED_PAD src0_sel:BYTE_0
	v_pk_fma_f16 v27, v22, v30, v27
	v_pack_b32_f16 v19, v19, v23
	v_pk_fma_f16 v28, v22, v31, v28
	v_pk_mul_f16 v18, v19, v18
	v_pk_fma_f16 v29, v18, v30, v29
	v_pk_fma_f16 v26, v18, v31, v26
	v_add_co_u32 v18, vcc_lo, v115, s28
	v_add_co_ci_u32_e64 v19, null, 0, v116, vcc_lo
	v_add_co_u32 v22, vcc_lo, v113, s28
	v_add_co_ci_u32_e64 v23, null, 0, v114, vcc_lo
	global_load_ushort v18, v[18:19], off
	v_mul_u32_u24_sdwa v30, v21, v229 dst_sel:DWORD dst_unused:UNUSED_PAD src0_sel:WORD_0 src1_sel:DWORD
	v_mul_u32_u24_sdwa v31, v25, v229 dst_sel:DWORD dst_unused:UNUSED_PAD src0_sel:WORD_0 src1_sel:DWORD
	global_load_dword v19, v[22:23], off offset:2
	v_mul_u32_u24_sdwa v21, v21, v229 dst_sel:DWORD dst_unused:UNUSED_PAD src0_sel:WORD_1 src1_sel:DWORD
	v_mul_u32_u24_sdwa v25, v25, v229 dst_sel:DWORD dst_unused:UNUSED_PAD src0_sel:WORD_1 src1_sel:DWORD
	s_waitcnt vmcnt(1)
	v_mul_u32_u24_e32 v18, 0x10001, v18
	s_waitcnt vmcnt(0)
	v_pk_lshrrev_b16 v22, 8, v19 op_sel:[1,0] op_sel_hi:[0,0]
	v_pk_lshrrev_b16 v19, 8, v19 op_sel:[1,1] op_sel_hi:[0,1]
	v_lshrrev_b32_e32 v23, 16, v22
	v_cvt_f16_i16_sdwa v22, sext(v22) dst_sel:DWORD dst_unused:UNUSED_PAD src0_sel:BYTE_0
	v_cvt_f16_i16_sdwa v23, sext(v23) dst_sel:DWORD dst_unused:UNUSED_PAD src0_sel:BYTE_0
	v_pack_b32_f16 v22, v22, v23
	v_lshrrev_b32_e32 v23, 16, v19
	v_cvt_f16_i16_sdwa v19, sext(v19) dst_sel:DWORD dst_unused:UNUSED_PAD src0_sel:BYTE_0
	v_pk_mul_f16 v22, v22, v18
	v_cvt_f16_i16_sdwa v23, sext(v23) dst_sel:DWORD dst_unused:UNUSED_PAD src0_sel:BYTE_0
	v_pk_fma_f16 v27, v22, v20, v27
	v_pack_b32_f16 v19, v19, v23
	v_pk_fma_f16 v28, v22, v24, v28
	v_pk_mul_f16 v18, v19, v18
	v_pk_fma_f16 v29, v18, v20, v29
	v_pk_fma_f16 v26, v18, v24, v26
	v_add_co_u32 v18, vcc_lo, v111, s28
	v_add_co_ci_u32_e64 v19, null, 0, v112, vcc_lo
	v_add_co_u32 v22, vcc_lo, v109, s28
	v_add_co_ci_u32_e64 v23, null, 0, v110, vcc_lo
	global_load_ushort v18, v[18:19], off
	global_load_dword v19, v[22:23], off offset:2
	s_waitcnt vmcnt(1)
	v_mul_u32_u24_e32 v18, 0x10001, v18
	s_waitcnt vmcnt(0)
	v_pk_lshrrev_b16 v20, 8, v19 op_sel:[1,0] op_sel_hi:[0,0]
	v_pk_lshrrev_b16 v19, 8, v19 op_sel:[1,1] op_sel_hi:[0,1]
	v_lshrrev_b32_e32 v22, 16, v20
	v_cvt_f16_i16_sdwa v20, sext(v20) dst_sel:DWORD dst_unused:UNUSED_PAD src0_sel:BYTE_0
	v_cvt_f16_i16_sdwa v22, sext(v22) dst_sel:DWORD dst_unused:UNUSED_PAD src0_sel:BYTE_0
	v_pack_b32_f16 v20, v20, v22
	v_pk_mul_f16 v22, v20, v18
	v_lshrrev_b32_e32 v20, 16, v19
	v_cvt_f16_i16_sdwa v19, sext(v19) dst_sel:DWORD dst_unused:UNUSED_PAD src0_sel:BYTE_0
	v_pk_fma_f16 v24, v22, v31, v28
	v_cvt_f16_i16_sdwa v20, sext(v20) dst_sel:DWORD dst_unused:UNUSED_PAD src0_sel:BYTE_0
	v_pack_b32_f16 v19, v19, v20
	v_pk_fma_f16 v20, v22, v30, v27
	v_pk_mul_f16 v18, v19, v18
	v_pk_fma_f16 v22, v18, v30, v29
	v_pk_fma_f16 v23, v18, v31, v26
	v_add_co_u32 v18, vcc_lo, v107, s28
	v_add_co_ci_u32_e64 v19, null, 0, v108, vcc_lo
	v_add_co_u32 v26, vcc_lo, v105, s28
	v_add_co_ci_u32_e64 v27, null, 0, v106, vcc_lo
	global_load_ushort v18, v[18:19], off
	v_add_co_u32 v89, vcc_lo, v89, s5
	global_load_dword v19, v[26:27], off offset:2
	v_add_co_ci_u32_e64 v90, null, 0, v90, vcc_lo
	v_add_co_u32 v79, vcc_lo, v79, s8
	v_add_co_ci_u32_e64 v80, null, s9, v80, vcc_lo
	v_add_co_u32 v91, vcc_lo, v91, s8
	;; [unrolled: 2-line block ×70, first 2 shown]
	v_add_co_ci_u32_e64 v228, null, 0, v228, vcc_lo
	s_waitcnt vmcnt(1)
	v_mul_u32_u24_e32 v18, 0x10001, v18
	s_waitcnt vmcnt(0)
	v_pk_lshrrev_b16 v26, 8, v19 op_sel:[1,0] op_sel_hi:[0,0]
	v_pk_lshrrev_b16 v19, 8, v19 op_sel:[1,1] op_sel_hi:[0,1]
	v_lshrrev_b32_e32 v27, 16, v26
	v_cvt_f16_i16_sdwa v26, sext(v26) dst_sel:DWORD dst_unused:UNUSED_PAD src0_sel:BYTE_0
	v_cvt_f16_i16_sdwa v27, sext(v27) dst_sel:DWORD dst_unused:UNUSED_PAD src0_sel:BYTE_0
	v_pack_b32_f16 v26, v26, v27
	v_lshrrev_b32_e32 v27, 16, v19
	v_cvt_f16_i16_sdwa v19, sext(v19) dst_sel:DWORD dst_unused:UNUSED_PAD src0_sel:BYTE_0
	v_pk_mul_f16 v26, v26, v18
	v_cvt_f16_i16_sdwa v27, sext(v27) dst_sel:DWORD dst_unused:UNUSED_PAD src0_sel:BYTE_0
	v_pack_b32_f16 v19, v19, v27
	v_pk_mul_f16 v27, v19, v18
	v_pk_fma_f16 v18, v26, v21, v20
	v_pk_fma_f16 v20, v26, v25, v24
	;; [unrolled: 1-line block ×4, first 2 shown]
	s_cbranch_scc1 .LBB19_28
; %bb.26:                               ;   in Loop: Header=BB19_17 Depth=1
	v_mov_b32_e32 v23, v70
	v_mov_b32_e32 v22, v71
	s_branch .LBB19_17
.LBB19_27:
	v_mov_b32_e32 v70, 0xfeffffff
	v_mov_b32_e32 v82, 0
	;; [unrolled: 1-line block ×4, first 2 shown]
	s_branch .LBB19_29
.LBB19_28:
	ds_write_b128 v76, v[18:21]
.LBB19_29:
	s_cmp_eq_u64 s[20:21], 0
	s_cselect_b32 s1, -1, 0
	s_cmp_lg_u32 s34, 0
	s_cselect_b32 s2, -1, 0
	s_or_b32 s1, s2, s1
	s_nor_b32 s0, s1, s0
	s_and_saveexec_b32 s1, s0
	s_cbranch_execz .LBB19_31
; %bb.30:
	s_ashr_i32 s39, s38, 31
	v_cmp_eq_u32_e32 vcc_lo, 1, v1
	s_lshl_b64 s[2:3], s[38:39], 2
	s_add_u32 s2, s20, s2
	s_addc_u32 s3, s21, s3
	v_cndmask_b32_e32 v2, v70, v71, vcc_lo
	s_load_dword s0, s[2:3], 0x0
	v_max_f32_e32 v3, v2, v2
	s_waitcnt lgkmcnt(0)
	v_max_f32_e64 v4, s0, s0
	v_max_f32_e32 v4, v4, v3
	v_sub_f32_e32 v5, s0, v4
	v_sub_f32_e32 v6, v2, v4
	v_cndmask_b32_e32 v71, v71, v4, vcc_lo
	v_mul_f32_e32 v2, 0x3fb8aa3b, v5
	v_mul_f32_e32 v3, 0x3fb8aa3b, v6
	v_cmp_ngt_f32_e64 s0, 0xc2ce8ed0, v5
	v_fma_f32 v7, 0x3fb8aa3b, v5, -v2
	v_rndne_f32_e32 v8, v2
	v_fma_f32 v9, 0x3fb8aa3b, v6, -v3
	v_rndne_f32_e32 v10, v3
	v_fmac_f32_e32 v7, 0x32a5705f, v5
	v_sub_f32_e32 v2, v2, v8
	v_fmac_f32_e32 v9, 0x32a5705f, v6
	v_sub_f32_e32 v3, v3, v10
	v_add_f32_e32 v2, v2, v7
	v_cvt_i32_f32_e32 v7, v8
	v_add_f32_e32 v3, v3, v9
	v_cvt_i32_f32_e32 v8, v10
	v_lshl_add_u32 v9, v1, 3, v76
	v_exp_f32_e32 v2, v2
	v_exp_f32_e32 v3, v3
	v_ldexp_f32 v7, v2, v7
	v_ldexp_f32 v8, v3, v8
	ds_read_b64 v[2:3], v9
	v_cndmask_b32_e64 v7, 0, v7, s0
	v_cmp_ngt_f32_e64 s0, 0xc2ce8ed0, v6
	v_cndmask_b32_e64 v8, 0, v8, s0
	v_cmp_nlt_f32_e64 s0, 0x42b17218, v5
	v_cndmask_b32_e64 v5, 0x7f800000, v7, s0
	v_cmp_nlt_f32_e64 s0, 0x42b17218, v6
	v_mov_b32_e32 v7, 0x10001
	v_cndmask_b32_e64 v6, 0x7f800000, v8, s0
	v_cmp_eq_u32_e64 s0, 0, v0
	v_cndmask_b32_e32 v8, v82, v81, vcc_lo
	v_cvt_f16_f32_e32 v10, v6
	v_cndmask_b32_e64 v5, 0, v5, s0
	v_cmp_eq_u32_e64 s0, 0, v1
	v_fmac_f32_e32 v5, v8, v6
	v_mul_u32_u24_sdwa v6, v10, v7 dst_sel:DWORD dst_unused:UNUSED_PAD src0_sel:WORD_0 src1_sel:DWORD
	v_cndmask_b32_e64 v70, v70, v4, s0
	v_cndmask_b32_e32 v81, v81, v5, vcc_lo
	s_waitcnt lgkmcnt(0)
	v_pk_mul_f16 v2, v2, v6
	v_pk_mul_f16 v3, v3, v6
	v_cndmask_b32_e64 v82, v82, v5, s0
	ds_write_b64 v9, v[2:3]
.LBB19_31:
	s_or_b32 exec_lo, exec_lo, s1
	v_add_nc_u32_e32 v4, 0x500, v74
	v_or_b32_e32 v10, 0x400, v74
	s_mov_b32 s0, exec_lo
	v_cmpx_eq_u32_e32 0, v1
	s_cbranch_execz .LBB19_33
; %bb.32:
	v_mov_b32_e32 v2, 0xfeffffff
	v_mov_b32_e32 v3, 0
	ds_write2_b32 v10, v2, v2 offset1:32
	ds_write2_b32 v4, v3, v3 offset1:32
.LBB19_33:
	s_or_b32 exec_lo, exec_lo, s0
	v_cmp_eq_u32_e64 s0, 0, v0
	s_waitcnt lgkmcnt(0)
	s_barrier
	buffer_gl0_inv
	s_and_saveexec_b32 s1, s0
; %bb.34:
	v_lshlrev_b32_e32 v2, 2, v1
	v_add_nc_u32_e32 v2, 0x400, v2
	ds_write2_b32 v2, v70, v71 offset1:32
; %bb.35:
	s_or_b32 exec_lo, exec_lo, s1
	s_cmp_lt_i32 s30, s36
	s_waitcnt lgkmcnt(0)
	s_barrier
	buffer_gl0_inv
	s_cbranch_scc1 .LBB19_37
; %bb.36:
	s_load_dword s2, s[6:7], 0xd4
	s_cbranch_execz .LBB19_38
	s_branch .LBB19_45
.LBB19_37:
                                        ; implicit-def: $sgpr2
.LBB19_38:
	ds_read_b32 v2, v10
	v_xor_b32_e32 v3, 16, v78
	v_xor_b32_e32 v6, 8, v78
	v_xor_b32_e32 v7, 4, v78
	v_xor_b32_e32 v8, 2, v78
	v_xor_b32_e32 v9, 1, v78
	v_cmp_gt_i32_e32 vcc_lo, 32, v3
	s_waitcnt lgkmcnt(0)
	s_load_dword s2, s[6:7], 0xd4
	v_mov_b32_e32 v15, 0x10001
	v_lshl_add_u32 v1, v1, 2, 0x500
	v_cndmask_b32_e32 v3, v78, v3, vcc_lo
	v_cmp_gt_i32_e32 vcc_lo, 32, v6
	v_lshlrev_b32_e32 v5, 2, v3
	v_cndmask_b32_e32 v6, v78, v6, vcc_lo
	v_cmp_gt_i32_e32 vcc_lo, 32, v7
	ds_bpermute_b32 v3, v5, v2
	v_max_f32_e32 v2, v2, v2
	v_lshlrev_b32_e32 v6, 2, v6
	v_cndmask_b32_e32 v7, v78, v7, vcc_lo
	v_cmp_gt_i32_e32 vcc_lo, 32, v8
	v_lshlrev_b32_e32 v7, 2, v7
	v_cndmask_b32_e32 v8, v78, v8, vcc_lo
	v_cmp_gt_i32_e32 vcc_lo, 32, v9
	v_lshlrev_b32_e32 v8, 2, v8
	v_cndmask_b32_e32 v9, v78, v9, vcc_lo
	v_lshlrev_b32_e32 v9, 2, v9
	s_waitcnt lgkmcnt(0)
	v_max_f32_e32 v3, v3, v3
	v_max_f32_e32 v2, v2, v3
	ds_bpermute_b32 v3, v6, v2
	s_waitcnt lgkmcnt(0)
	v_max_f32_e32 v3, v3, v3
	v_max_f32_e32 v2, v2, v3
	ds_bpermute_b32 v3, v7, v2
	s_waitcnt lgkmcnt(0)
	v_max_f32_e32 v3, v3, v3
	v_max_f32_e32 v2, v2, v3
	ds_bpermute_b32 v3, v8, v2
	s_waitcnt lgkmcnt(0)
	v_max_f32_e32 v3, v3, v3
	v_max_f32_e32 v2, v2, v3
	ds_bpermute_b32 v3, v9, v2
	s_waitcnt lgkmcnt(0)
	v_max_f32_e32 v3, v3, v3
	v_max_f32_e32 v2, v2, v3
	v_sub_f32_e32 v3, v70, v2
	v_mul_f32_e32 v11, 0x3fb8aa3b, v3
	v_cmp_ngt_f32_e32 vcc_lo, 0xc2ce8ed0, v3
	v_fma_f32 v12, 0x3fb8aa3b, v3, -v11
	v_rndne_f32_e32 v13, v11
	v_fmamk_f32 v12, v3, 0x32a5705f, v12
	v_sub_f32_e32 v11, v11, v13
	v_add_f32_e32 v11, v11, v12
	v_cvt_i32_f32_e32 v12, v13
	ds_read_b64 v[13:14], v76
	v_exp_f32_e32 v11, v11
	v_ldexp_f32 v11, v11, v12
	v_cndmask_b32_e32 v11, 0, v11, vcc_lo
	v_cmp_nlt_f32_e32 vcc_lo, 0x42b17218, v3
	v_cndmask_b32_e32 v11, 0x7f800000, v11, vcc_lo
	v_mul_f32_e32 v3, v82, v11
	ds_bpermute_b32 v3, v5, v3
	s_waitcnt lgkmcnt(0)
	v_fmac_f32_e32 v3, v82, v11
	v_cvt_f16_f32_e32 v11, v11
	ds_bpermute_b32 v12, v6, v3
	v_mul_u32_u24_sdwa v11, v11, v15 dst_sel:DWORD dst_unused:UNUSED_PAD src0_sel:WORD_0 src1_sel:DWORD
	v_lshlrev_b32_e32 v15, 3, v0
	v_pk_mul_f16 v13, v13, v11
	v_pk_mul_f16 v14, v14, v11
	v_add_nc_u32_e32 v11, v72, v15
	ds_write_b64 v76, v[13:14]
	ds_write_b64 v11, v[13:14]
	s_waitcnt lgkmcnt(2)
	v_add_f32_e32 v3, v3, v12
	ds_bpermute_b32 v12, v7, v3
	s_waitcnt lgkmcnt(0)
	v_add_f32_e32 v3, v3, v12
	ds_bpermute_b32 v12, v8, v3
	;; [unrolled: 3-line block ×3, first 2 shown]
	s_and_saveexec_b32 s1, s0
	s_cbranch_execz .LBB19_40
; %bb.39:
	s_waitcnt lgkmcnt(0)
	v_add_f32_e32 v3, v3, v12
	ds_write_b32 v1, v3
.LBB19_40:
	s_or_b32 exec_lo, exec_lo, s1
	s_waitcnt lgkmcnt(0)
	s_barrier
	buffer_gl0_inv
	ds_read_b32 v3, v4
	ds_read_u16 v12, v75
	ds_read_u16 v13, v75 offset:256
	ds_read_u16 v14, v75 offset:512
	;; [unrolled: 1-line block ×3, first 2 shown]
	s_cmp_eq_u32 s2, 1
	s_mul_i32 s3, s33, s36
	s_cselect_b32 s1, -1, 0
	s_add_i32 s3, s30, s3
	s_mul_i32 s3, s3, s37
	s_add_i32 s3, s3, s38
	s_mul_i32 s4, s2, s3
	s_add_i32 s4, s4, s34
	s_waitcnt lgkmcnt(4)
	ds_bpermute_b32 v16, v5, v3
	s_waitcnt lgkmcnt(4)
	v_cvt_f32_f16_e32 v12, v12
	s_waitcnt lgkmcnt(3)
	v_cvt_f32_f16_e32 v13, v13
	;; [unrolled: 2-line block ×3, first 2 shown]
	v_add_f32_e32 v12, 0, v12
	v_add_f32_e32 v12, v12, v13
	s_waitcnt lgkmcnt(1)
	v_cvt_f32_f16_e32 v13, v15
	v_add_f32_e32 v12, v12, v14
	s_waitcnt lgkmcnt(0)
	v_add_f32_e32 v3, v3, v16
	v_add_f32_e32 v14, v12, v13
	ds_bpermute_b32 v16, v6, v3
	s_waitcnt lgkmcnt(0)
	v_add_f32_e32 v3, v3, v16
	ds_bpermute_b32 v16, v7, v3
	s_waitcnt lgkmcnt(0)
	v_add_f32_e32 v3, v3, v16
	ds_bpermute_b32 v16, v8, v3
	s_waitcnt lgkmcnt(0)
	v_add_f32_e32 v3, v3, v16
	ds_bpermute_b32 v16, v9, v3
	s_waitcnt lgkmcnt(0)
	v_add_f32_e32 v82, v3, v16
	v_div_scale_f32 v3, null, v82, v82, v14
	v_div_scale_f32 v15, vcc_lo, v14, v82, v14
	v_rcp_f32_e32 v12, v3
	v_fma_f32 v13, -v3, v12, 1.0
	v_fmac_f32_e32 v12, v13, v12
	v_mul_f32_e32 v13, v15, v12
	v_fma_f32 v16, -v3, v13, v15
	v_fmac_f32_e32 v13, v16, v12
	v_fma_f32 v3, -v3, v13, v15
	v_div_fmas_f32 v3, v3, v12, v13
	v_mov_b32_e32 v13, 0
	v_lshl_or_b32 v12, s4, 7, v73
	s_or_b32 s4, s30, 1
	v_div_fixup_f32 v3, v3, v82, v14
	s_cmp_ge_i32 s4, s36
	v_lshlrev_b64 v[12:13], 2, v[12:13]
	v_cndmask_b32_e64 v14, v14, v3, s1
	v_mov_b32_e32 v3, v71
	v_add_co_u32 v12, vcc_lo, s24, v12
	v_add_co_ci_u32_e64 v13, null, s25, v13, vcc_lo
	global_store_dword v[12:13], v14, off
	s_waitcnt_vscnt null, 0x0
	s_barrier
	buffer_gl0_inv
	s_cbranch_scc1 .LBB19_44
; %bb.41:
	ds_read_b32 v3, v10 offset:128
	v_mov_b32_e32 v16, 0x10001
	s_waitcnt lgkmcnt(0)
	ds_bpermute_b32 v10, v5, v3
	v_max_f32_e32 v3, v3, v3
	s_waitcnt lgkmcnt(0)
	v_max_f32_e32 v10, v10, v10
	v_max_f32_e32 v3, v3, v10
	ds_bpermute_b32 v10, v6, v3
	s_waitcnt lgkmcnt(0)
	v_max_f32_e32 v10, v10, v10
	v_max_f32_e32 v3, v3, v10
	ds_bpermute_b32 v10, v7, v3
	;; [unrolled: 4-line block ×4, first 2 shown]
	s_waitcnt lgkmcnt(0)
	v_max_f32_e32 v10, v10, v10
	v_max_f32_e32 v3, v3, v10
	v_sub_f32_e32 v10, v71, v3
	v_mul_f32_e32 v12, 0x3fb8aa3b, v10
	v_cmp_ngt_f32_e32 vcc_lo, 0xc2ce8ed0, v10
	v_fma_f32 v13, 0x3fb8aa3b, v10, -v12
	v_rndne_f32_e32 v14, v12
	v_fmamk_f32 v13, v10, 0x32a5705f, v13
	v_sub_f32_e32 v12, v12, v14
	v_add_f32_e32 v12, v12, v13
	v_cvt_i32_f32_e32 v13, v14
	v_exp_f32_e32 v12, v12
	v_ldexp_f32 v12, v12, v13
	ds_read_b64 v[13:14], v76 offset:8
	v_cndmask_b32_e32 v12, 0, v12, vcc_lo
	v_cmp_nlt_f32_e32 vcc_lo, 0x42b17218, v10
	v_cndmask_b32_e32 v15, 0x7f800000, v12, vcc_lo
	v_mul_f32_e32 v10, v81, v15
	ds_bpermute_b32 v10, v5, v10
	s_waitcnt lgkmcnt(0)
	v_fmac_f32_e32 v10, v81, v15
	v_cvt_f16_f32_e32 v15, v15
	ds_bpermute_b32 v12, v6, v10
	v_mul_u32_u24_sdwa v15, v15, v16 dst_sel:DWORD dst_unused:UNUSED_PAD src0_sel:WORD_0 src1_sel:DWORD
	v_pk_mul_f16 v13, v13, v15
	v_pk_mul_f16 v14, v14, v15
	ds_write_b64 v76, v[13:14] offset:8
	ds_write_b64 v11, v[13:14]
	s_waitcnt lgkmcnt(2)
	v_add_f32_e32 v10, v10, v12
	ds_bpermute_b32 v12, v7, v10
	s_waitcnt lgkmcnt(0)
	v_add_f32_e32 v10, v10, v12
	ds_bpermute_b32 v12, v8, v10
	;; [unrolled: 3-line block ×3, first 2 shown]
	s_and_saveexec_b32 s4, s0
	s_cbranch_execz .LBB19_43
; %bb.42:
	s_waitcnt lgkmcnt(0)
	v_add_f32_e32 v10, v10, v12
	ds_write_b32 v1, v10 offset:128
.LBB19_43:
	s_or_b32 exec_lo, exec_lo, s4
	s_waitcnt lgkmcnt(0)
	s_barrier
	buffer_gl0_inv
	ds_read_b32 v1, v4 offset:128
	ds_read_u16 v4, v75
	ds_read_u16 v10, v75 offset:256
	ds_read_u16 v11, v75 offset:512
	;; [unrolled: 1-line block ×3, first 2 shown]
	s_add_i32 s3, s3, s37
	s_mul_i32 s0, s2, s3
	s_add_i32 s0, s0, s34
	s_waitcnt lgkmcnt(4)
	ds_bpermute_b32 v5, v5, v1
	s_waitcnt lgkmcnt(4)
	v_cvt_f32_f16_e32 v4, v4
	v_add_f32_e32 v4, 0, v4
	s_waitcnt lgkmcnt(0)
	v_add_f32_e32 v1, v1, v5
	ds_bpermute_b32 v5, v6, v1
	v_cvt_f32_f16_e32 v6, v10
	v_add_f32_e32 v4, v4, v6
	v_cvt_f32_f16_e32 v6, v12
	s_waitcnt lgkmcnt(0)
	v_add_f32_e32 v1, v1, v5
	ds_bpermute_b32 v5, v7, v1
	v_cvt_f32_f16_e32 v7, v11
	v_add_f32_e32 v4, v4, v7
	v_add_f32_e32 v6, v4, v6
	s_waitcnt lgkmcnt(0)
	v_add_f32_e32 v1, v1, v5
	ds_bpermute_b32 v5, v8, v1
	s_waitcnt lgkmcnt(0)
	v_add_f32_e32 v1, v1, v5
	ds_bpermute_b32 v5, v9, v1
	s_waitcnt lgkmcnt(0)
	v_add_f32_e32 v81, v1, v5
	v_div_scale_f32 v1, null, v81, v81, v6
	v_div_scale_f32 v5, vcc_lo, v6, v81, v6
	v_rcp_f32_e32 v7, v1
	v_fma_f32 v4, -v1, v7, 1.0
	v_fmac_f32_e32 v7, v4, v7
	v_mul_f32_e32 v8, v5, v7
	v_fma_f32 v4, -v1, v8, v5
	v_fmac_f32_e32 v8, v4, v7
	v_lshl_or_b32 v4, s0, 7, v73
	v_fma_f32 v1, -v1, v8, v5
	v_mov_b32_e32 v5, 0
	v_div_fmas_f32 v1, v1, v7, v8
	v_lshlrev_b64 v[4:5], 2, v[4:5]
	v_div_fixup_f32 v1, v1, v81, v6
	v_add_co_u32 v4, vcc_lo, s24, v4
	v_add_co_ci_u32_e64 v5, null, s25, v5, vcc_lo
	v_cndmask_b32_e64 v1, v6, v1, s1
	global_store_dword v[4:5], v1, off
.LBB19_44:
	v_mov_b32_e32 v71, v3
	v_mov_b32_e32 v70, v2
.LBB19_45:
	v_or_b32_e32 v0, s30, v0
	v_cmp_gt_u32_e32 vcc_lo, 2, v73
	s_waitcnt lgkmcnt(0)
	s_cmp_lg_u32 s2, 1
	s_cselect_b32 s1, -1, 0
	v_cmp_gt_i32_e64 s0, s36, v0
	s_and_b32 s1, s1, vcc_lo
	s_and_b32 s0, s1, s0
	s_and_saveexec_b32 s1, s0
	s_cbranch_execz .LBB19_47
; %bb.46:
	v_mad_u64_u32 v[0:1], null, s33, s36, v[0:1]
	v_cmp_eq_u32_e32 vcc_lo, 1, v73
	v_cndmask_b32_e32 v2, v70, v71, vcc_lo
	v_mad_u64_u32 v[0:1], null, v0, s37, s[38:39]
	v_cndmask_b32_e32 v3, v82, v81, vcc_lo
	v_mad_u64_u32 v[0:1], null, s2, v0, s[34:35]
	v_mov_b32_e32 v1, 0
	v_lshlrev_b64 v[0:1], 3, v[0:1]
	v_add_co_u32 v0, vcc_lo, s26, v0
	v_add_co_ci_u32_e64 v1, null, s27, v1, vcc_lo
	global_store_dwordx2 v[0:1], v[2:3], off
.LBB19_47:
	s_endpgm
	.section	.rodata,"a",@progbits
	.p2align	6, 0x0
	.amdhsa_kernel _ZL18flash_attn_ext_vecILi128ELi2EL9ggml_type2ELS0_8ELb0EEvPKcS2_S2_S2_S2_PKiPfP15HIP_vector_typeIfLj2EEffffjfiS6_IjLj3EEiiiiiiiiiiiliiliiiiil
		.amdhsa_group_segment_fixed_size 3584
		.amdhsa_private_segment_fixed_size 0
		.amdhsa_kernarg_size 464
		.amdhsa_user_sgpr_count 8
		.amdhsa_user_sgpr_private_segment_buffer 1
		.amdhsa_user_sgpr_dispatch_ptr 1
		.amdhsa_user_sgpr_queue_ptr 0
		.amdhsa_user_sgpr_kernarg_segment_ptr 1
		.amdhsa_user_sgpr_dispatch_id 0
		.amdhsa_user_sgpr_flat_scratch_init 0
		.amdhsa_user_sgpr_private_segment_size 0
		.amdhsa_wavefront_size32 1
		.amdhsa_uses_dynamic_stack 0
		.amdhsa_system_sgpr_private_segment_wavefront_offset 0
		.amdhsa_system_sgpr_workgroup_id_x 1
		.amdhsa_system_sgpr_workgroup_id_y 1
		.amdhsa_system_sgpr_workgroup_id_z 1
		.amdhsa_system_sgpr_workgroup_info 0
		.amdhsa_system_vgpr_workitem_id 2
		.amdhsa_next_free_vgpr 252
		.amdhsa_next_free_sgpr 50
		.amdhsa_reserve_vcc 1
		.amdhsa_reserve_flat_scratch 0
		.amdhsa_float_round_mode_32 0
		.amdhsa_float_round_mode_16_64 0
		.amdhsa_float_denorm_mode_32 3
		.amdhsa_float_denorm_mode_16_64 3
		.amdhsa_dx10_clamp 1
		.amdhsa_ieee_mode 1
		.amdhsa_fp16_overflow 0
		.amdhsa_workgroup_processor_mode 1
		.amdhsa_memory_ordered 1
		.amdhsa_forward_progress 1
		.amdhsa_shared_vgpr_count 0
		.amdhsa_exception_fp_ieee_invalid_op 0
		.amdhsa_exception_fp_denorm_src 0
		.amdhsa_exception_fp_ieee_div_zero 0
		.amdhsa_exception_fp_ieee_overflow 0
		.amdhsa_exception_fp_ieee_underflow 0
		.amdhsa_exception_fp_ieee_inexact 0
		.amdhsa_exception_int_div_zero 0
	.end_amdhsa_kernel
	.section	.text._ZL18flash_attn_ext_vecILi128ELi2EL9ggml_type2ELS0_8ELb0EEvPKcS2_S2_S2_S2_PKiPfP15HIP_vector_typeIfLj2EEffffjfiS6_IjLj3EEiiiiiiiiiiiliiliiiiil,"axG",@progbits,_ZL18flash_attn_ext_vecILi128ELi2EL9ggml_type2ELS0_8ELb0EEvPKcS2_S2_S2_S2_PKiPfP15HIP_vector_typeIfLj2EEffffjfiS6_IjLj3EEiiiiiiiiiiiliiliiiiil,comdat
.Lfunc_end19:
	.size	_ZL18flash_attn_ext_vecILi128ELi2EL9ggml_type2ELS0_8ELb0EEvPKcS2_S2_S2_S2_PKiPfP15HIP_vector_typeIfLj2EEffffjfiS6_IjLj3EEiiiiiiiiiiiliiliiiiil, .Lfunc_end19-_ZL18flash_attn_ext_vecILi128ELi2EL9ggml_type2ELS0_8ELb0EEvPKcS2_S2_S2_S2_PKiPfP15HIP_vector_typeIfLj2EEffffjfiS6_IjLj3EEiiiiiiiiiiiliiliiiiil
                                        ; -- End function
	.set _ZL18flash_attn_ext_vecILi128ELi2EL9ggml_type2ELS0_8ELb0EEvPKcS2_S2_S2_S2_PKiPfP15HIP_vector_typeIfLj2EEffffjfiS6_IjLj3EEiiiiiiiiiiiliiliiiiil.num_vgpr, 252
	.set _ZL18flash_attn_ext_vecILi128ELi2EL9ggml_type2ELS0_8ELb0EEvPKcS2_S2_S2_S2_PKiPfP15HIP_vector_typeIfLj2EEffffjfiS6_IjLj3EEiiiiiiiiiiiliiliiiiil.num_agpr, 0
	.set _ZL18flash_attn_ext_vecILi128ELi2EL9ggml_type2ELS0_8ELb0EEvPKcS2_S2_S2_S2_PKiPfP15HIP_vector_typeIfLj2EEffffjfiS6_IjLj3EEiiiiiiiiiiiliiliiiiil.numbered_sgpr, 50
	.set _ZL18flash_attn_ext_vecILi128ELi2EL9ggml_type2ELS0_8ELb0EEvPKcS2_S2_S2_S2_PKiPfP15HIP_vector_typeIfLj2EEffffjfiS6_IjLj3EEiiiiiiiiiiiliiliiiiil.num_named_barrier, 0
	.set _ZL18flash_attn_ext_vecILi128ELi2EL9ggml_type2ELS0_8ELb0EEvPKcS2_S2_S2_S2_PKiPfP15HIP_vector_typeIfLj2EEffffjfiS6_IjLj3EEiiiiiiiiiiiliiliiiiil.private_seg_size, 0
	.set _ZL18flash_attn_ext_vecILi128ELi2EL9ggml_type2ELS0_8ELb0EEvPKcS2_S2_S2_S2_PKiPfP15HIP_vector_typeIfLj2EEffffjfiS6_IjLj3EEiiiiiiiiiiiliiliiiiil.uses_vcc, 1
	.set _ZL18flash_attn_ext_vecILi128ELi2EL9ggml_type2ELS0_8ELb0EEvPKcS2_S2_S2_S2_PKiPfP15HIP_vector_typeIfLj2EEffffjfiS6_IjLj3EEiiiiiiiiiiiliiliiiiil.uses_flat_scratch, 0
	.set _ZL18flash_attn_ext_vecILi128ELi2EL9ggml_type2ELS0_8ELb0EEvPKcS2_S2_S2_S2_PKiPfP15HIP_vector_typeIfLj2EEffffjfiS6_IjLj3EEiiiiiiiiiiiliiliiiiil.has_dyn_sized_stack, 0
	.set _ZL18flash_attn_ext_vecILi128ELi2EL9ggml_type2ELS0_8ELb0EEvPKcS2_S2_S2_S2_PKiPfP15HIP_vector_typeIfLj2EEffffjfiS6_IjLj3EEiiiiiiiiiiiliiliiiiil.has_recursion, 0
	.set _ZL18flash_attn_ext_vecILi128ELi2EL9ggml_type2ELS0_8ELb0EEvPKcS2_S2_S2_S2_PKiPfP15HIP_vector_typeIfLj2EEffffjfiS6_IjLj3EEiiiiiiiiiiiliiliiiiil.has_indirect_call, 0
	.section	.AMDGPU.csdata,"",@progbits
; Kernel info:
; codeLenInByte = 19300
; TotalNumSgprs: 52
; NumVgprs: 252
; ScratchSize: 0
; MemoryBound: 0
; FloatMode: 240
; IeeeMode: 1
; LDSByteSize: 3584 bytes/workgroup (compile time only)
; SGPRBlocks: 0
; VGPRBlocks: 31
; NumSGPRsForWavesPerEU: 52
; NumVGPRsForWavesPerEU: 252
; Occupancy: 4
; WaveLimiterHint : 0
; COMPUTE_PGM_RSRC2:SCRATCH_EN: 0
; COMPUTE_PGM_RSRC2:USER_SGPR: 8
; COMPUTE_PGM_RSRC2:TRAP_HANDLER: 0
; COMPUTE_PGM_RSRC2:TGID_X_EN: 1
; COMPUTE_PGM_RSRC2:TGID_Y_EN: 1
; COMPUTE_PGM_RSRC2:TGID_Z_EN: 1
; COMPUTE_PGM_RSRC2:TIDIG_COMP_CNT: 2
	.section	.text._ZL33flash_attn_stream_k_fixup_uniformILi128ELi2ELi1EEvPfPK15HIP_vector_typeIfLj2EEiiiiiiS1_IjLj3EES5_S5_,"axG",@progbits,_ZL33flash_attn_stream_k_fixup_uniformILi128ELi2ELi1EEvPfPK15HIP_vector_typeIfLj2EEiiiiiiS1_IjLj3EES5_S5_,comdat
	.globl	_ZL33flash_attn_stream_k_fixup_uniformILi128ELi2ELi1EEvPfPK15HIP_vector_typeIfLj2EEiiiiiiS1_IjLj3EES5_S5_ ; -- Begin function _ZL33flash_attn_stream_k_fixup_uniformILi128ELi2ELi1EEvPfPK15HIP_vector_typeIfLj2EEiiiiiiS1_IjLj3EES5_S5_
	.p2align	8
	.type	_ZL33flash_attn_stream_k_fixup_uniformILi128ELi2ELi1EEvPfPK15HIP_vector_typeIfLj2EEiiiiiiS1_IjLj3EES5_S5_,@function
_ZL33flash_attn_stream_k_fixup_uniformILi128ELi2ELi1EEvPfPK15HIP_vector_typeIfLj2EEiiiiiiS1_IjLj3EES5_S5_: ; @_ZL33flash_attn_stream_k_fixup_uniformILi128ELi2ELi1EEvPfPK15HIP_vector_typeIfLj2EEiiiiiiS1_IjLj3EES5_S5_
; %bb.0:
	s_clause 0x2
	s_load_dwordx8 s[12:19], s[4:5], 0x1c
	s_load_dwordx4 s[20:23], s[4:5], 0x3c
	s_load_dwordx2 s[10:11], s[4:5], 0x10
	s_waitcnt lgkmcnt(0)
	s_mul_hi_u32 s0, s15, s6
	s_add_i32 s0, s6, s0
	s_lshr_b32 s0, s0, s16
	s_mul_i32 s1, s0, s17
	s_sub_i32 s2, s6, s1
	s_mul_hi_u32 s1, s2, s18
	s_add_i32 s1, s2, s1
	s_lshr_b32 s1, s1, s19
	s_mul_i32 s3, s1, s20
	s_sub_i32 s2, s2, s3
	;; [unrolled: 5-line block ×3, first 2 shown]
	s_lshl_b32 s2, s15, 1
	s_add_i32 s2, s2, s7
	s_cmp_lt_i32 s2, s10
	s_cselect_b32 s2, -1, 0
	s_add_i32 s3, s9, s8
	s_cmp_lt_i32 s3, s13
	s_cselect_b32 s3, -1, 0
	s_and_b32 s2, s2, s3
	s_andn2_b32 vcc_lo, exec_lo, s2
	s_cbranch_vccnz .LBB20_6
; %bb.1:
	s_mul_i32 s0, s0, s10
	s_mul_i32 s10, s1, s13
	s_add_i32 s0, s0, s7
	s_mul_i32 s0, s0, s11
	s_add_i32 s13, s0, s8
	s_load_dwordx4 s[0:3], s[4:5], 0x0
	s_add_i32 s4, s13, s10
	s_mul_i32 s5, s11, s15
	s_add_i32 s4, s4, s9
	s_lshl_b32 s5, s5, 8
	s_lshl_b32 s4, s4, 7
	s_add_i32 s8, s7, s8
	s_add_i32 s5, s5, s4
	s_mul_i32 s4, s14, s6
	v_or_b32_e32 v1, s5, v0
	s_add_i32 s9, s4, s14
	v_ashrrev_i32_e32 v2, 31, v1
	v_lshlrev_b64 v[1:2], 2, v[1:2]
	s_waitcnt lgkmcnt(0)
	v_add_co_u32 v1, vcc_lo, s0, v1
	v_add_co_ci_u32_e64 v2, null, s1, v2, vcc_lo
	s_lshl_b32 s0, s9, 1
	s_add_i32 s0, s8, s0
	global_load_dword v5, v[1:2], off
	s_add_i32 s0, s0, -2
	s_ashr_i32 s1, s0, 31
	s_lshl_b64 s[0:1], s[0:1], 3
	s_add_u32 s0, s2, s0
	s_addc_u32 s1, s3, s1
	s_add_i32 s5, s9, -2
	s_load_dword s10, s[0:1], 0x4
	s_cmp_lt_i32 s5, s4
	s_cbranch_scc1 .LBB20_4
; %bb.2:
	s_lshl_b32 s16, s12, 3
	s_load_dword s11, s[0:1], 0x0
	s_ashr_i32 s17, s16, 31
	s_waitcnt lgkmcnt(0)
	v_mov_b32_e32 v6, s10
	s_lshl_b64 s[0:1], s[16:17], 2
	s_add_u32 s5, s2, s0
	s_addc_u32 s7, s3, s1
	s_add_i32 s6, s6, 1
	s_lshl_b32 s1, s8, 7
	s_mul_i32 s0, s14, s6
	s_lshl_b32 s6, s0, 8
	s_lshl_b32 s0, s0, 1
	s_add_i32 s1, s1, s6
	s_add_i32 s0, s8, s0
	v_or_b32_e32 v0, s1, v0
	s_lshl_b32 s1, s12, 1
	s_add_i32 s6, s9, -1
	s_add_i32 s0, s0, s1
	v_add_nc_u32_e32 v3, 0xfffffe00, v0
	v_mov_b32_e32 v0, s11
	s_add_i32 s0, s0, -4
.LBB20_3:                               ; =>This Inner Loop Header: Depth=1
	v_ashrrev_i32_e32 v4, 31, v3
	s_ashr_i32 s1, s0, 31
	s_lshl_b64 s[8:9], s[0:1], 3
	s_add_u32 s8, s2, s8
	v_lshlrev_b64 v[7:8], 2, v[3:4]
	s_addc_u32 s9, s3, s9
	v_add_nc_u32_e32 v3, 0xffffff00, v3
	s_add_i32 s6, s6, -1
	s_add_i32 s0, s0, -2
	s_cmp_le_i32 s6, s4
	v_add_co_u32 v7, vcc_lo, s5, v7
	v_add_co_ci_u32_e64 v8, null, s7, v8, vcc_lo
	s_load_dwordx2 s[8:9], s[8:9], 0x0
	global_load_dword v4, v[7:8], off
	v_max_f32_e32 v7, v0, v0
	s_waitcnt lgkmcnt(0)
	v_max_f32_e64 v8, s8, s8
	v_max_f32_e32 v7, v7, v8
	v_sub_f32_e32 v8, s8, v7
	v_sub_f32_e32 v0, v0, v7
	v_mul_f32_e32 v9, 0x3fb8aa3b, v8
	v_mul_f32_e32 v12, 0x3fb8aa3b, v0
	v_cmp_ngt_f32_e32 vcc_lo, 0xc2ce8ed0, v8
	v_fma_f32 v10, 0x3fb8aa3b, v8, -v9
	v_rndne_f32_e32 v11, v9
	v_fma_f32 v13, 0x3fb8aa3b, v0, -v12
	v_rndne_f32_e32 v14, v12
	v_fmac_f32_e32 v10, 0x32a5705f, v8
	v_sub_f32_e32 v9, v9, v11
	v_fmac_f32_e32 v13, 0x32a5705f, v0
	v_cvt_i32_f32_e32 v11, v11
	v_add_f32_e32 v9, v9, v10
	v_sub_f32_e32 v10, v12, v14
	v_exp_f32_e32 v9, v9
	v_add_f32_e32 v10, v10, v13
	v_exp_f32_e32 v10, v10
	v_ldexp_f32 v9, v9, v11
	v_cvt_i32_f32_e32 v11, v14
	v_cndmask_b32_e32 v9, 0, v9, vcc_lo
	v_cmp_nlt_f32_e32 vcc_lo, 0x42b17218, v8
	v_ldexp_f32 v10, v10, v11
	v_mov_b32_e32 v11, v6
	v_cndmask_b32_e32 v9, 0x7f800000, v9, vcc_lo
	v_cmp_ngt_f32_e32 vcc_lo, 0xc2ce8ed0, v0
	v_cndmask_b32_e32 v10, 0, v10, vcc_lo
	v_cmp_le_f32_e32 vcc_lo, 0xc1a00000, v8
	v_cndmask_b32_e32 v8, 0, v9, vcc_lo
	v_cmp_nlt_f32_e32 vcc_lo, 0x42b17218, v0
	s_waitcnt vmcnt(1)
	v_mov_b32_e32 v9, v5
	v_cndmask_b32_e32 v5, 0x7f800000, v10, vcc_lo
	v_mul_f32_e32 v10, s9, v8
	v_cmp_le_f32_e32 vcc_lo, 0xc1a00000, v0
	v_mov_b32_e32 v0, v7
	v_mov_b32_e32 v6, v10
	v_cndmask_b32_e32 v12, 0, v5, vcc_lo
	v_fmac_f32_e32 v6, v11, v12
	s_waitcnt vmcnt(0)
	v_mul_f32_e32 v5, v4, v8
	v_fmac_f32_e32 v5, v9, v12
	s_cbranch_scc0 .LBB20_3
	s_branch .LBB20_5
.LBB20_4:
	s_waitcnt lgkmcnt(0)
	v_mov_b32_e32 v6, s10
.LBB20_5:
	s_waitcnt vmcnt(0)
	v_div_scale_f32 v0, null, v6, v6, v5
	v_rcp_f32_e32 v3, v0
	v_fma_f32 v4, -v0, v3, 1.0
	v_fmac_f32_e32 v3, v4, v3
	v_div_scale_f32 v4, vcc_lo, v5, v6, v5
	v_mul_f32_e32 v7, v4, v3
	v_fma_f32 v8, -v0, v7, v4
	v_fmac_f32_e32 v7, v8, v3
	v_fma_f32 v0, -v0, v7, v4
	v_div_fmas_f32 v0, v0, v3, v7
	v_div_fixup_f32 v0, v0, v6, v5
	global_store_dword v[1:2], v0, off
.LBB20_6:
	s_endpgm
	.section	.rodata,"a",@progbits
	.p2align	6, 0x0
	.amdhsa_kernel _ZL33flash_attn_stream_k_fixup_uniformILi128ELi2ELi1EEvPfPK15HIP_vector_typeIfLj2EEiiiiiiS1_IjLj3EES5_S5_
		.amdhsa_group_segment_fixed_size 0
		.amdhsa_private_segment_fixed_size 0
		.amdhsa_kernarg_size 76
		.amdhsa_user_sgpr_count 6
		.amdhsa_user_sgpr_private_segment_buffer 1
		.amdhsa_user_sgpr_dispatch_ptr 0
		.amdhsa_user_sgpr_queue_ptr 0
		.amdhsa_user_sgpr_kernarg_segment_ptr 1
		.amdhsa_user_sgpr_dispatch_id 0
		.amdhsa_user_sgpr_flat_scratch_init 0
		.amdhsa_user_sgpr_private_segment_size 0
		.amdhsa_wavefront_size32 1
		.amdhsa_uses_dynamic_stack 0
		.amdhsa_system_sgpr_private_segment_wavefront_offset 0
		.amdhsa_system_sgpr_workgroup_id_x 1
		.amdhsa_system_sgpr_workgroup_id_y 1
		.amdhsa_system_sgpr_workgroup_id_z 1
		.amdhsa_system_sgpr_workgroup_info 0
		.amdhsa_system_vgpr_workitem_id 0
		.amdhsa_next_free_vgpr 15
		.amdhsa_next_free_sgpr 24
		.amdhsa_reserve_vcc 1
		.amdhsa_reserve_flat_scratch 0
		.amdhsa_float_round_mode_32 0
		.amdhsa_float_round_mode_16_64 0
		.amdhsa_float_denorm_mode_32 3
		.amdhsa_float_denorm_mode_16_64 3
		.amdhsa_dx10_clamp 1
		.amdhsa_ieee_mode 1
		.amdhsa_fp16_overflow 0
		.amdhsa_workgroup_processor_mode 1
		.amdhsa_memory_ordered 1
		.amdhsa_forward_progress 1
		.amdhsa_shared_vgpr_count 0
		.amdhsa_exception_fp_ieee_invalid_op 0
		.amdhsa_exception_fp_denorm_src 0
		.amdhsa_exception_fp_ieee_div_zero 0
		.amdhsa_exception_fp_ieee_overflow 0
		.amdhsa_exception_fp_ieee_underflow 0
		.amdhsa_exception_fp_ieee_inexact 0
		.amdhsa_exception_int_div_zero 0
	.end_amdhsa_kernel
	.section	.text._ZL33flash_attn_stream_k_fixup_uniformILi128ELi2ELi1EEvPfPK15HIP_vector_typeIfLj2EEiiiiiiS1_IjLj3EES5_S5_,"axG",@progbits,_ZL33flash_attn_stream_k_fixup_uniformILi128ELi2ELi1EEvPfPK15HIP_vector_typeIfLj2EEiiiiiiS1_IjLj3EES5_S5_,comdat
.Lfunc_end20:
	.size	_ZL33flash_attn_stream_k_fixup_uniformILi128ELi2ELi1EEvPfPK15HIP_vector_typeIfLj2EEiiiiiiS1_IjLj3EES5_S5_, .Lfunc_end20-_ZL33flash_attn_stream_k_fixup_uniformILi128ELi2ELi1EEvPfPK15HIP_vector_typeIfLj2EEiiiiiiS1_IjLj3EES5_S5_
                                        ; -- End function
	.set _ZL33flash_attn_stream_k_fixup_uniformILi128ELi2ELi1EEvPfPK15HIP_vector_typeIfLj2EEiiiiiiS1_IjLj3EES5_S5_.num_vgpr, 15
	.set _ZL33flash_attn_stream_k_fixup_uniformILi128ELi2ELi1EEvPfPK15HIP_vector_typeIfLj2EEiiiiiiS1_IjLj3EES5_S5_.num_agpr, 0
	.set _ZL33flash_attn_stream_k_fixup_uniformILi128ELi2ELi1EEvPfPK15HIP_vector_typeIfLj2EEiiiiiiS1_IjLj3EES5_S5_.numbered_sgpr, 24
	.set _ZL33flash_attn_stream_k_fixup_uniformILi128ELi2ELi1EEvPfPK15HIP_vector_typeIfLj2EEiiiiiiS1_IjLj3EES5_S5_.num_named_barrier, 0
	.set _ZL33flash_attn_stream_k_fixup_uniformILi128ELi2ELi1EEvPfPK15HIP_vector_typeIfLj2EEiiiiiiS1_IjLj3EES5_S5_.private_seg_size, 0
	.set _ZL33flash_attn_stream_k_fixup_uniformILi128ELi2ELi1EEvPfPK15HIP_vector_typeIfLj2EEiiiiiiS1_IjLj3EES5_S5_.uses_vcc, 1
	.set _ZL33flash_attn_stream_k_fixup_uniformILi128ELi2ELi1EEvPfPK15HIP_vector_typeIfLj2EEiiiiiiS1_IjLj3EES5_S5_.uses_flat_scratch, 0
	.set _ZL33flash_attn_stream_k_fixup_uniformILi128ELi2ELi1EEvPfPK15HIP_vector_typeIfLj2EEiiiiiiS1_IjLj3EES5_S5_.has_dyn_sized_stack, 0
	.set _ZL33flash_attn_stream_k_fixup_uniformILi128ELi2ELi1EEvPfPK15HIP_vector_typeIfLj2EEiiiiiiS1_IjLj3EES5_S5_.has_recursion, 0
	.set _ZL33flash_attn_stream_k_fixup_uniformILi128ELi2ELi1EEvPfPK15HIP_vector_typeIfLj2EEiiiiiiS1_IjLj3EES5_S5_.has_indirect_call, 0
	.section	.AMDGPU.csdata,"",@progbits
; Kernel info:
; codeLenInByte = 828
; TotalNumSgprs: 26
; NumVgprs: 15
; ScratchSize: 0
; MemoryBound: 0
; FloatMode: 240
; IeeeMode: 1
; LDSByteSize: 0 bytes/workgroup (compile time only)
; SGPRBlocks: 0
; VGPRBlocks: 1
; NumSGPRsForWavesPerEU: 26
; NumVGPRsForWavesPerEU: 15
; Occupancy: 16
; WaveLimiterHint : 0
; COMPUTE_PGM_RSRC2:SCRATCH_EN: 0
; COMPUTE_PGM_RSRC2:USER_SGPR: 6
; COMPUTE_PGM_RSRC2:TRAP_HANDLER: 0
; COMPUTE_PGM_RSRC2:TGID_X_EN: 1
; COMPUTE_PGM_RSRC2:TGID_Y_EN: 1
; COMPUTE_PGM_RSRC2:TGID_Z_EN: 1
; COMPUTE_PGM_RSRC2:TIDIG_COMP_CNT: 0
	.section	.text._ZL33flash_attn_stream_k_fixup_generalILi128ELi2ELi1EEvPfPK15HIP_vector_typeIfLj2EEiiiiS1_IjLj3EES5_S5_S5_,"axG",@progbits,_ZL33flash_attn_stream_k_fixup_generalILi128ELi2ELi1EEvPfPK15HIP_vector_typeIfLj2EEiiiiS1_IjLj3EES5_S5_S5_,comdat
	.globl	_ZL33flash_attn_stream_k_fixup_generalILi128ELi2ELi1EEvPfPK15HIP_vector_typeIfLj2EEiiiiS1_IjLj3EES5_S5_S5_ ; -- Begin function _ZL33flash_attn_stream_k_fixup_generalILi128ELi2ELi1EEvPfPK15HIP_vector_typeIfLj2EEiiiiS1_IjLj3EES5_S5_S5_
	.p2align	8
	.type	_ZL33flash_attn_stream_k_fixup_generalILi128ELi2ELi1EEvPfPK15HIP_vector_typeIfLj2EEiiiiS1_IjLj3EES5_S5_S5_,@function
_ZL33flash_attn_stream_k_fixup_generalILi128ELi2ELi1EEvPfPK15HIP_vector_typeIfLj2EEiiiiS1_IjLj3EES5_S5_S5_: ; @_ZL33flash_attn_stream_k_fixup_generalILi128ELi2ELi1EEvPfPK15HIP_vector_typeIfLj2EEiiiiS1_IjLj3EES5_S5_S5_
; %bb.0:
	s_clause 0x1
	s_load_dwordx4 s[0:3], s[4:5], 0x10
	s_load_dword s9, s[4:5], 0x50
	s_mov_b32 s16, 0
	s_waitcnt lgkmcnt(0)
	s_mul_hi_i32 s17, s3, s6
	s_mul_i32 s18, s3, s6
	s_cmp_lg_u64 s[16:17], 0
	s_cbranch_scc0 .LBB21_21
; %bb.1:
	s_add_u32 s10, s9, 0
	s_addc_u32 s11, 0, 0
	s_xor_b64 s[10:11], s[10:11], 0
	v_cvt_f32_u32_e32 v1, s10
	v_cvt_f32_u32_e32 v2, s11
	s_sub_u32 s14, 0, s10
	s_subb_u32 s15, 0, s11
	v_fmamk_f32 v1, v2, 0x4f800000, v1
	v_rcp_f32_e32 v1, v1
	v_mul_f32_e32 v1, 0x5f7ffffc, v1
	v_mul_f32_e32 v2, 0x2f800000, v1
	v_trunc_f32_e32 v2, v2
	v_fmamk_f32 v1, v2, 0xcf800000, v1
	v_cvt_u32_f32_e32 v2, v2
	v_cvt_u32_f32_e32 v1, v1
	v_readfirstlane_b32 s12, v2
	v_readfirstlane_b32 s13, v1
	s_mul_i32 s19, s14, s12
	s_mul_hi_u32 s21, s14, s13
	s_mul_i32 s20, s15, s13
	s_add_i32 s19, s21, s19
	s_mul_i32 s22, s14, s13
	s_add_i32 s19, s19, s20
	s_mul_hi_u32 s21, s13, s22
	s_mul_i32 s24, s13, s19
	s_mul_hi_u32 s23, s12, s22
	s_mul_i32 s20, s12, s22
	s_mul_hi_u32 s22, s13, s19
	s_add_u32 s21, s21, s24
	s_addc_u32 s22, 0, s22
	s_mul_hi_u32 s25, s12, s19
	s_add_u32 s20, s21, s20
	s_mul_i32 s19, s12, s19
	s_addc_u32 s20, s22, s23
	s_addc_u32 s21, s25, 0
	s_add_u32 s19, s20, s19
	s_addc_u32 s20, 0, s21
	s_add_u32 s13, s13, s19
	s_cselect_b32 s19, -1, 0
	s_mul_hi_u32 s21, s14, s13
	s_cmp_lg_u32 s19, 0
	s_mul_i32 s19, s14, s13
	s_addc_u32 s12, s12, s20
	s_mul_i32 s15, s15, s13
	s_mul_i32 s14, s14, s12
	s_mul_hi_u32 s20, s13, s19
	s_add_i32 s14, s21, s14
	s_mul_hi_u32 s21, s12, s19
	s_add_i32 s14, s14, s15
	s_mul_i32 s15, s12, s19
	s_mul_i32 s23, s13, s14
	s_mul_hi_u32 s22, s13, s14
	s_add_u32 s20, s20, s23
	s_addc_u32 s22, 0, s22
	s_mul_hi_u32 s19, s12, s14
	s_add_u32 s15, s20, s15
	s_mul_i32 s14, s12, s14
	s_addc_u32 s15, s22, s21
	s_addc_u32 s19, s19, 0
	s_add_u32 s14, s15, s14
	s_addc_u32 s15, 0, s19
	s_add_u32 s19, s13, s14
	s_cselect_b32 s13, -1, 0
	s_cmp_lg_u32 s13, 0
	s_addc_u32 s20, s12, s15
	s_ashr_i32 s12, s17, 31
	s_add_u32 s14, s18, s12
	s_mov_b32 s13, s12
	s_addc_u32 s15, s17, s12
	s_xor_b64 s[14:15], s[14:15], s[12:13]
	s_mul_i32 s21, s14, s20
	s_mul_hi_u32 s22, s14, s19
	s_mul_hi_u32 s17, s14, s20
	;; [unrolled: 1-line block ×3, first 2 shown]
	s_mul_i32 s19, s15, s19
	s_add_u32 s21, s22, s21
	s_addc_u32 s17, 0, s17
	s_mul_hi_u32 s23, s15, s20
	s_add_u32 s19, s21, s19
	s_mul_i32 s20, s15, s20
	s_addc_u32 s17, s17, s24
	s_addc_u32 s19, s23, 0
	s_add_u32 s17, s17, s20
	s_addc_u32 s19, 0, s19
	s_mul_hi_u32 s20, s10, s17
	s_mul_i32 s21, s10, s19
	s_mul_i32 s22, s11, s17
	s_add_i32 s20, s20, s21
	s_mul_i32 s21, s10, s17
	s_add_i32 s20, s20, s22
	s_sub_i32 s22, s15, s20
	s_sub_u32 s14, s14, s21
	s_cselect_b32 s21, -1, 0
	s_cmp_lg_u32 s21, 0
	s_subb_u32 s22, s22, s11
	s_sub_u32 s23, s14, s10
	s_cselect_b32 s24, -1, 0
	s_cmp_lg_u32 s24, 0
	s_subb_u32 s22, s22, 0
	s_cmp_ge_u32 s22, s11
	s_cselect_b32 s24, -1, 0
	s_cmp_ge_u32 s23, s10
	s_cselect_b32 s23, -1, 0
	s_cmp_eq_u32 s22, s11
	s_cselect_b32 s22, s23, s24
	s_add_u32 s23, s17, 1
	s_addc_u32 s24, s19, 0
	s_add_u32 s25, s17, 2
	s_addc_u32 s26, s19, 0
	s_cmp_lg_u32 s22, 0
	s_cselect_b32 s22, s25, s23
	s_cselect_b32 s23, s26, s24
	s_cmp_lg_u32 s21, 0
	s_subb_u32 s15, s15, s20
	s_cmp_ge_u32 s15, s11
	s_cselect_b32 s20, -1, 0
	s_cmp_ge_u32 s14, s10
	s_cselect_b32 s10, -1, 0
	s_cmp_eq_u32 s15, s11
	s_cselect_b32 s10, s10, s20
	s_cmp_lg_u32 s10, 0
	s_cselect_b32 s11, s23, s19
	s_cselect_b32 s10, s22, s17
	s_xor_b64 s[12:13], s[12:13], 0
	s_xor_b64 s[10:11], s[10:11], s[12:13]
	s_sub_u32 s10, s10, s12
	s_load_dwordx4 s[12:15], s[4:5], 0x44
	s_andn2_b32 vcc_lo, exec_lo, s16
	s_cbranch_vccnz .LBB21_3
.LBB21_2:
	v_cvt_f32_u32_e32 v1, s9
	s_sub_i32 s11, 0, s9
	v_rcp_iflag_f32_e32 v1, v1
	v_mul_f32_e32 v1, 0x4f7ffffe, v1
	v_cvt_u32_f32_e32 v1, v1
	v_readfirstlane_b32 s10, v1
	s_mul_i32 s11, s11, s10
	s_mul_hi_u32 s11, s10, s11
	s_add_i32 s10, s10, s11
	s_mul_hi_u32 s10, s18, s10
	s_mul_i32 s11, s10, s9
	s_waitcnt lgkmcnt(0)
	s_add_i32 s15, s10, 1
	s_sub_i32 s11, s18, s11
	s_sub_i32 s16, s11, s9
	s_cmp_ge_u32 s11, s9
	s_cselect_b32 s10, s15, s10
	s_cselect_b32 s11, s16, s11
	s_add_i32 s15, s10, 1
	s_cmp_ge_u32 s11, s9
	s_cselect_b32 s10, s15, s10
.LBB21_3:
	s_add_i32 s11, s6, 1
	s_mov_b32 s16, 0
	s_mul_hi_i32 s17, s3, s11
	s_mul_i32 s11, s3, s11
	s_cmp_lg_u64 s[16:17], 0
	s_cbranch_scc0 .LBB21_22
; %bb.4:
	s_add_u32 s18, s9, 0
	s_addc_u32 s19, 0, 0
	s_xor_b64 s[18:19], s[18:19], 0
	v_cvt_f32_u32_e32 v1, s18
	v_cvt_f32_u32_e32 v2, s19
	s_sub_u32 s21, 0, s18
	s_subb_u32 s22, 0, s19
	v_fmamk_f32 v1, v2, 0x4f800000, v1
	v_rcp_f32_e32 v1, v1
	v_mul_f32_e32 v1, 0x5f7ffffc, v1
	v_mul_f32_e32 v2, 0x2f800000, v1
	v_trunc_f32_e32 v2, v2
	v_fmamk_f32 v1, v2, 0xcf800000, v1
	v_cvt_u32_f32_e32 v2, v2
	v_cvt_u32_f32_e32 v1, v1
	s_waitcnt lgkmcnt(0)
	v_readfirstlane_b32 s15, v2
	v_readfirstlane_b32 s20, v1
	s_mul_i32 s23, s21, s15
	s_mul_hi_u32 s25, s21, s20
	s_mul_i32 s24, s22, s20
	s_add_i32 s23, s25, s23
	s_mul_i32 s26, s21, s20
	s_add_i32 s23, s23, s24
	s_mul_hi_u32 s25, s20, s26
	s_mul_i32 s28, s20, s23
	s_mul_hi_u32 s27, s15, s26
	s_mul_i32 s24, s15, s26
	s_mul_hi_u32 s26, s20, s23
	s_add_u32 s25, s25, s28
	s_addc_u32 s26, 0, s26
	s_mul_hi_u32 s29, s15, s23
	s_add_u32 s24, s25, s24
	s_mul_i32 s23, s15, s23
	s_addc_u32 s24, s26, s27
	s_addc_u32 s25, s29, 0
	s_add_u32 s23, s24, s23
	s_addc_u32 s24, 0, s25
	s_add_u32 s20, s20, s23
	s_cselect_b32 s23, -1, 0
	s_mul_hi_u32 s25, s21, s20
	s_cmp_lg_u32 s23, 0
	s_mul_i32 s23, s21, s20
	s_addc_u32 s15, s15, s24
	s_mul_i32 s22, s22, s20
	s_mul_i32 s21, s21, s15
	s_mul_hi_u32 s24, s20, s23
	s_add_i32 s21, s25, s21
	s_mul_hi_u32 s25, s15, s23
	s_add_i32 s21, s21, s22
	s_mul_i32 s22, s15, s23
	s_mul_i32 s27, s20, s21
	s_mul_hi_u32 s26, s20, s21
	s_add_u32 s24, s24, s27
	s_addc_u32 s26, 0, s26
	s_mul_hi_u32 s23, s15, s21
	s_add_u32 s22, s24, s22
	s_mul_i32 s21, s15, s21
	s_addc_u32 s22, s26, s25
	s_addc_u32 s23, s23, 0
	s_add_u32 s21, s22, s21
	s_addc_u32 s22, 0, s23
	s_add_u32 s24, s20, s21
	s_cselect_b32 s20, -1, 0
	s_cmp_lg_u32 s20, 0
	s_addc_u32 s15, s15, s22
	s_ashr_i32 s20, s17, 31
	s_add_u32 s22, s11, s20
	s_mov_b32 s21, s20
	s_addc_u32 s23, s17, s20
	s_xor_b64 s[22:23], s[22:23], s[20:21]
	s_mul_i32 s25, s22, s15
	s_mul_hi_u32 s26, s22, s24
	s_mul_hi_u32 s17, s22, s15
	;; [unrolled: 1-line block ×3, first 2 shown]
	s_mul_i32 s24, s23, s24
	s_add_u32 s25, s26, s25
	s_addc_u32 s17, 0, s17
	s_mul_hi_u32 s27, s23, s15
	s_add_u32 s24, s25, s24
	s_mul_i32 s15, s23, s15
	s_addc_u32 s17, s17, s28
	s_addc_u32 s24, s27, 0
	s_add_u32 s15, s17, s15
	s_addc_u32 s17, 0, s24
	s_mul_hi_u32 s24, s18, s15
	s_mul_i32 s25, s18, s17
	s_mul_i32 s26, s19, s15
	s_add_i32 s24, s24, s25
	s_mul_i32 s25, s18, s15
	s_add_i32 s24, s24, s26
	s_sub_i32 s26, s23, s24
	s_sub_u32 s22, s22, s25
	s_cselect_b32 s25, -1, 0
	s_cmp_lg_u32 s25, 0
	s_subb_u32 s26, s26, s19
	s_sub_u32 s27, s22, s18
	s_cselect_b32 s28, -1, 0
	s_cmp_lg_u32 s28, 0
	s_subb_u32 s26, s26, 0
	s_cmp_ge_u32 s26, s19
	s_cselect_b32 s28, -1, 0
	s_cmp_ge_u32 s27, s18
	s_cselect_b32 s27, -1, 0
	s_cmp_eq_u32 s26, s19
	s_cselect_b32 s26, s27, s28
	s_add_u32 s27, s15, 1
	s_addc_u32 s28, s17, 0
	s_add_u32 s29, s15, 2
	s_addc_u32 s30, s17, 0
	s_cmp_lg_u32 s26, 0
	s_cselect_b32 s26, s29, s27
	s_cselect_b32 s27, s30, s28
	s_cmp_lg_u32 s25, 0
	s_subb_u32 s23, s23, s24
	s_cmp_ge_u32 s23, s19
	s_cselect_b32 s24, -1, 0
	s_cmp_ge_u32 s22, s18
	s_cselect_b32 s18, -1, 0
	s_cmp_eq_u32 s23, s19
	s_cselect_b32 s18, s18, s24
	s_cmp_lg_u32 s18, 0
	s_cselect_b32 s19, s27, s17
	s_cselect_b32 s18, s26, s15
	s_xor_b64 s[20:21], s[20:21], 0
	s_xor_b64 s[18:19], s[18:19], s[20:21]
	s_sub_u32 s18, s18, s20
	s_andn2_b32 vcc_lo, exec_lo, s16
	s_cbranch_vccnz .LBB21_6
.LBB21_5:
	v_cvt_f32_u32_e32 v1, s9
	s_sub_i32 s16, 0, s9
	v_rcp_iflag_f32_e32 v1, v1
	v_mul_f32_e32 v1, 0x4f7ffffe, v1
	v_cvt_u32_f32_e32 v1, v1
	s_waitcnt lgkmcnt(0)
	v_readfirstlane_b32 s15, v1
	s_mul_i32 s16, s16, s15
	s_mul_hi_u32 s16, s15, s16
	s_add_i32 s15, s15, s16
	s_mul_hi_u32 s15, s11, s15
	s_mul_i32 s16, s15, s9
	s_sub_i32 s11, s11, s16
	s_add_i32 s16, s15, 1
	s_sub_i32 s17, s11, s9
	s_cmp_ge_u32 s11, s9
	s_cselect_b32 s15, s16, s15
	s_cselect_b32 s11, s17, s11
	s_add_i32 s16, s15, 1
	s_cmp_ge_u32 s11, s9
	s_cselect_b32 s18, s16, s15
.LBB21_6:
	s_cmp_eq_u32 s10, s18
	s_waitcnt lgkmcnt(0)
	s_mul_hi_u32 s11, s10, s12
	s_cselect_b32 s15, -1, 0
	s_add_i32 s11, s11, s10
	s_lshr_b32 s11, s11, s13
	s_mul_i32 s16, s11, s14
	s_cmp_eq_u32 s16, s10
	s_mul_hi_u32 s16, s18, s12
	s_cselect_b32 s17, -1, 0
	s_add_i32 s16, s16, s18
	s_lshr_b32 s16, s16, s13
	s_cmp_eq_u32 s11, s16
	s_mul_i32 s16, s16, s14
	s_cselect_b32 s19, -1, 0
	s_cmp_lg_u32 s16, s18
	s_cselect_b32 s16, -1, 0
	s_or_b32 s15, s15, s17
	s_and_b32 s16, s19, s16
	s_or_b32 s15, s15, s16
	s_and_b32 vcc_lo, exec_lo, s15
	s_cbranch_vccnz .LBB21_24
; %bb.7:
	s_load_dwordx8 s[20:27], s[4:5], 0x20
	s_waitcnt lgkmcnt(0)
	s_mul_hi_u32 s15, s10, s20
	s_add_i32 s15, s15, s10
	s_lshr_b32 s20, s15, s21
	s_load_dword s15, s[4:5], 0x40
	s_mul_i32 s16, s20, s22
	s_sub_i32 s16, s10, s16
	s_mul_hi_u32 s17, s16, s23
	s_add_i32 s17, s16, s17
	s_lshr_b32 s22, s17, s24
	s_mul_i32 s17, s22, s25
	s_sub_i32 s16, s16, s17
	s_mul_hi_u32 s17, s16, s26
	s_add_i32 s17, s16, s17
	s_lshr_b32 s23, s17, s27
	s_waitcnt lgkmcnt(0)
	s_mul_i32 s15, s23, s15
	s_sub_i32 s15, s16, s15
	s_mul_hi_u32 s16, s15, s12
	s_add_i32 s15, s15, s16
	s_lshr_b32 s24, s15, s13
	s_lshl_b32 s15, s24, 1
	s_add_i32 s15, s15, s7
	s_cmp_lt_i32 s15, s0
	s_cselect_b32 s15, -1, 0
	s_add_i32 s16, s23, s8
	s_cmp_lt_i32 s16, s2
	s_cselect_b32 s16, -1, 0
	s_and_b32 s15, s15, s16
	s_andn2_b32 vcc_lo, exec_lo, s15
	s_cbranch_vccnz .LBB21_24
; %bb.8:
	s_load_dwordx4 s[16:19], s[4:5], 0x0
	s_mov_b32 s4, 0
	s_lshl_b32 s26, s9, 3
	s_mov_b32 s27, s4
	s_add_i32 s15, s7, s8
	s_lshl_b64 s[26:27], s[26:27], 2
	s_mul_i32 s0, s20, s0
	s_mul_i32 s22, s22, s2
	v_cvt_f32_u32_e32 v4, s9
	v_rcp_iflag_f32_e32 v4, v4
	s_waitcnt lgkmcnt(0)
	s_add_u32 s20, s18, s26
	s_addc_u32 s21, s19, s27
	s_add_i32 s0, s0, s7
	v_mul_f32_e32 v4, 0x4f7ffffe, v4
	s_mul_i32 s0, s0, s1
	s_mul_i32 s1, s1, s24
	s_add_i32 s0, s0, s8
	s_lshl_b32 s1, s1, 8
	s_add_i32 s0, s0, s22
	v_cvt_u32_f32_e32 v4, v4
	s_add_i32 s0, s0, s23
	s_lshl_b32 s0, s0, 7
	s_add_i32 s1, s1, s0
	s_lshl_b32 s0, s6, 1
	v_or_b32_e32 v1, s1, v0
	s_add_i32 s0, s0, s15
	v_lshl_or_b32 v0, s15, 7, v0
	s_ashr_i32 s1, s0, 31
	v_ashrrev_i32_e32 v2, 31, v1
	s_lshl_b64 s[0:1], s[0:1], 3
	s_add_u32 s0, s18, s0
	s_addc_u32 s1, s19, s1
	v_lshlrev_b64 v[1:2], 2, v[1:2]
	s_load_dwordx2 s[0:1], s[0:1], 0x0
	s_add_i32 s8, s6, -1
	s_sub_i32 s2, 0, s9
	v_add_co_u32 v1, vcc_lo, s16, v1
	v_add_co_ci_u32_e64 v2, null, s17, v2, vcc_lo
	global_load_dword v3, v[1:2], off
	s_waitcnt lgkmcnt(0)
	v_mov_b32_e32 v5, s1
	v_mov_b32_e32 v6, s0
.LBB21_9:                               ; =>This Inner Loop Header: Depth=1
	s_mul_hi_i32 s5, s8, s3
	s_mul_i32 s6, s8, s3
	s_cmp_lg_u64 s[4:5], 0
	s_mov_b32 s7, -1
                                        ; implicit-def: $sgpr0_sgpr1
	s_cbranch_scc0 .LBB21_11
; %bb.10:                               ;   in Loop: Header=BB21_9 Depth=1
	s_add_u32 s0, s9, 0
	s_addc_u32 s1, 0, 0
	s_xor_b64 s[0:1], s[0:1], 0
	v_cvt_f32_u32_e32 v7, s0
	v_cvt_f32_u32_e32 v8, s1
	s_sub_u32 s17, 0, s0
	s_subb_u32 s22, 0, s1
	v_fmac_f32_e32 v7, 0x4f800000, v8
	v_rcp_f32_e32 v7, v7
	v_mul_f32_e32 v7, 0x5f7ffffc, v7
	v_mul_f32_e32 v8, 0x2f800000, v7
	v_trunc_f32_e32 v8, v8
	v_fmac_f32_e32 v7, 0xcf800000, v8
	v_cvt_u32_f32_e32 v8, v8
	v_cvt_u32_f32_e32 v7, v7
	v_readfirstlane_b32 s7, v8
	v_readfirstlane_b32 s16, v7
	s_mul_i32 s23, s17, s7
	s_mul_hi_u32 s25, s17, s16
	s_mul_i32 s24, s22, s16
	s_add_i32 s23, s25, s23
	s_mul_i32 s26, s17, s16
	s_add_i32 s23, s23, s24
	s_mul_hi_u32 s25, s16, s26
	s_mul_i32 s28, s16, s23
	s_mul_hi_u32 s27, s7, s26
	s_mul_i32 s24, s7, s26
	s_mul_hi_u32 s26, s16, s23
	s_add_u32 s25, s25, s28
	s_addc_u32 s26, 0, s26
	s_mul_hi_u32 s29, s7, s23
	s_add_u32 s24, s25, s24
	s_mul_i32 s23, s7, s23
	s_addc_u32 s24, s26, s27
	s_addc_u32 s25, s29, 0
	s_add_u32 s23, s24, s23
	s_addc_u32 s24, 0, s25
	s_add_u32 s16, s16, s23
	s_cselect_b32 s23, -1, 0
	s_mul_hi_u32 s25, s17, s16
	s_cmp_lg_u32 s23, 0
	s_mul_i32 s23, s17, s16
	s_addc_u32 s7, s7, s24
	s_mul_i32 s22, s22, s16
	s_mul_i32 s17, s17, s7
	s_mul_hi_u32 s24, s16, s23
	s_add_i32 s17, s25, s17
	s_mul_hi_u32 s25, s7, s23
	s_add_i32 s17, s17, s22
	s_mul_i32 s22, s7, s23
	s_mul_i32 s27, s16, s17
	s_mul_hi_u32 s26, s16, s17
	s_add_u32 s24, s24, s27
	s_addc_u32 s26, 0, s26
	s_mul_hi_u32 s23, s7, s17
	s_add_u32 s22, s24, s22
	s_mul_i32 s17, s7, s17
	s_addc_u32 s22, s26, s25
	s_addc_u32 s23, s23, 0
	s_add_u32 s17, s22, s17
	s_addc_u32 s22, 0, s23
	s_add_u32 s24, s16, s17
	s_cselect_b32 s16, -1, 0
	s_cmp_lg_u32 s16, 0
	s_addc_u32 s7, s7, s22
	s_ashr_i32 s16, s5, 31
	s_add_u32 s22, s6, s16
	s_mov_b32 s17, s16
	s_addc_u32 s23, s5, s16
	s_xor_b64 s[22:23], s[22:23], s[16:17]
	s_mul_i32 s25, s22, s7
	s_mul_hi_u32 s26, s22, s24
	s_mul_hi_u32 s5, s22, s7
	;; [unrolled: 1-line block ×3, first 2 shown]
	s_mul_i32 s24, s23, s24
	s_add_u32 s25, s26, s25
	s_addc_u32 s5, 0, s5
	s_mul_hi_u32 s27, s23, s7
	s_add_u32 s24, s25, s24
	s_mul_i32 s7, s23, s7
	s_addc_u32 s5, s5, s28
	s_addc_u32 s24, s27, 0
	s_add_u32 s5, s5, s7
	s_addc_u32 s7, 0, s24
	s_mul_hi_u32 s24, s0, s5
	s_mul_i32 s25, s0, s7
	s_mul_i32 s26, s1, s5
	s_add_i32 s24, s24, s25
	s_mul_i32 s25, s0, s5
	s_add_i32 s24, s24, s26
	s_sub_i32 s26, s23, s24
	s_sub_u32 s22, s22, s25
	s_cselect_b32 s25, -1, 0
	s_cmp_lg_u32 s25, 0
	s_subb_u32 s26, s26, s1
	s_sub_u32 s27, s22, s0
	s_cselect_b32 s28, -1, 0
	s_cmp_lg_u32 s28, 0
	s_subb_u32 s26, s26, 0
	s_cmp_ge_u32 s26, s1
	s_cselect_b32 s28, -1, 0
	s_cmp_ge_u32 s27, s0
	s_cselect_b32 s27, -1, 0
	s_cmp_eq_u32 s26, s1
	s_cselect_b32 s26, s27, s28
	s_add_u32 s27, s5, 1
	s_addc_u32 s28, s7, 0
	s_add_u32 s29, s5, 2
	s_addc_u32 s30, s7, 0
	s_cmp_lg_u32 s26, 0
	s_cselect_b32 s26, s29, s27
	s_cselect_b32 s27, s30, s28
	s_cmp_lg_u32 s25, 0
	s_subb_u32 s23, s23, s24
	s_cmp_ge_u32 s23, s1
	s_cselect_b32 s24, -1, 0
	s_cmp_ge_u32 s22, s0
	s_cselect_b32 s0, -1, 0
	s_cmp_eq_u32 s23, s1
	s_cselect_b32 s0, s0, s24
	s_cmp_lg_u32 s0, 0
	s_cselect_b32 s1, s27, s7
	s_cselect_b32 s0, s26, s5
	s_xor_b64 s[16:17], s[16:17], 0
	s_mov_b32 s7, 0
	s_xor_b64 s[0:1], s[0:1], s[16:17]
	s_sub_u32 s0, s0, s16
.LBB21_11:                              ;   in Loop: Header=BB21_9 Depth=1
	s_andn2_b32 vcc_lo, exec_lo, s7
	s_cbranch_vccnz .LBB21_13
; %bb.12:                               ;   in Loop: Header=BB21_9 Depth=1
	v_readfirstlane_b32 s0, v4
	s_mul_i32 s1, s2, s0
	s_mul_hi_u32 s1, s0, s1
	s_add_i32 s0, s0, s1
	s_mul_hi_u32 s0, s6, s0
	s_mul_i32 s1, s0, s9
	s_add_i32 s5, s0, 1
	s_sub_i32 s1, s6, s1
	s_sub_i32 s6, s1, s9
	s_cmp_ge_u32 s1, s9
	s_cselect_b32 s0, s5, s0
	s_cselect_b32 s1, s6, s1
	s_add_i32 s5, s0, 1
	s_cmp_ge_u32 s1, s9
	s_cselect_b32 s0, s5, s0
.LBB21_13:                              ;   in Loop: Header=BB21_9 Depth=1
	s_cmp_lg_u32 s10, s0
	s_mov_b32 s6, -1
                                        ; implicit-def: $sgpr5
                                        ; implicit-def: $vgpr8
                                        ; implicit-def: $vgpr7
                                        ; implicit-def: $vgpr9
                                        ; implicit-def: $sgpr1
                                        ; implicit-def: $sgpr16
	s_cbranch_scc0 .LBB21_18
; %bb.14:                               ;   in Loop: Header=BB21_9 Depth=1
	s_add_i32 s1, s8, s9
	s_mov_b32 s7, s4
	s_lshl_b32 s1, s1, 1
	s_mov_b32 s16, s10
	s_add_i32 s6, s1, s15
	s_mul_hi_u32 s1, s0, s12
	s_lshl_b64 s[6:7], s[6:7], 3
	s_add_u32 s6, s18, s6
	s_addc_u32 s7, s19, s7
	s_add_i32 s1, s1, s0
	s_lshr_b32 s1, s1, s13
	s_mul_i32 s5, s1, s14
	s_cmp_eq_u32 s5, s0
	s_cselect_b32 s5, -1, 0
	s_cmp_lt_u32 s1, s11
	s_cselect_b32 s1, -1, 0
	s_or_b32 s1, s1, s5
	s_mov_b32 s5, -1
	s_and_b32 vcc_lo, exec_lo, s1
	s_mov_b32 s1, s8
	s_cbranch_vccnz .LBB21_16
; %bb.15:                               ;   in Loop: Header=BB21_9 Depth=1
	s_add_i32 s1, s8, -1
	s_mov_b32 s5, 0
	s_mov_b32 s16, s0
.LBB21_16:                              ;   in Loop: Header=BB21_9 Depth=1
	v_lshl_add_u32 v7, s8, 8, v0
	s_load_dwordx2 s[6:7], s[6:7], 0x0
	v_ashrrev_i32_e32 v8, 31, v7
	v_lshlrev_b64 v[7:8], 2, v[7:8]
	v_add_co_u32 v7, vcc_lo, s20, v7
	v_add_co_ci_u32_e64 v8, null, s21, v8, vcc_lo
	s_waitcnt lgkmcnt(0)
	v_max_f32_e64 v9, s6, s6
	global_load_dword v8, v[7:8], off
	v_max_f32_e32 v7, v6, v6
	v_max_f32_e32 v7, v7, v9
	v_sub_f32_e32 v9, s6, v7
	v_sub_f32_e32 v10, v6, v7
	v_mul_f32_e32 v11, 0x3fb8aa3b, v9
	v_mul_f32_e32 v12, 0x3fb8aa3b, v10
	v_cmp_ngt_f32_e32 vcc_lo, 0xc2ce8ed0, v9
	v_fma_f32 v13, 0x3fb8aa3b, v9, -v11
	v_rndne_f32_e32 v14, v11
	v_fma_f32 v15, 0x3fb8aa3b, v10, -v12
	v_rndne_f32_e32 v16, v12
	v_fmac_f32_e32 v13, 0x32a5705f, v9
	v_sub_f32_e32 v11, v11, v14
	v_fmac_f32_e32 v15, 0x32a5705f, v10
	v_sub_f32_e32 v12, v12, v16
	v_add_f32_e32 v11, v11, v13
	v_cvt_i32_f32_e32 v13, v14
	v_add_f32_e32 v12, v12, v15
	v_cvt_i32_f32_e32 v14, v16
	v_exp_f32_e32 v11, v11
	v_exp_f32_e32 v12, v12
	v_ldexp_f32 v11, v11, v13
	v_ldexp_f32 v12, v12, v14
	v_cndmask_b32_e32 v11, 0, v11, vcc_lo
	v_cmp_ngt_f32_e32 vcc_lo, 0xc2ce8ed0, v10
	v_cndmask_b32_e32 v12, 0, v12, vcc_lo
	v_cmp_nlt_f32_e32 vcc_lo, 0x42b17218, v9
	v_cndmask_b32_e32 v11, 0x7f800000, v11, vcc_lo
	v_cmp_nlt_f32_e32 vcc_lo, 0x42b17218, v10
	v_cndmask_b32_e32 v12, 0x7f800000, v12, vcc_lo
	v_cmp_le_f32_e32 vcc_lo, 0xc1a00000, v9
	v_cndmask_b32_e32 v9, 0, v11, vcc_lo
	v_cmp_le_f32_e32 vcc_lo, 0xc1a00000, v10
	v_cndmask_b32_e32 v10, 0, v12, vcc_lo
	s_waitcnt vmcnt(0)
	v_mul_f32_e32 v8, v8, v9
	v_mul_f32_e32 v9, s7, v9
	v_fmac_f32_e32 v8, v3, v10
	v_fmac_f32_e32 v9, v5, v10
	s_cbranch_execz .LBB21_19
.LBB21_17:                              ;   in Loop: Header=BB21_9 Depth=1
	s_andn2_b32 vcc_lo, exec_lo, s5
	s_cbranch_vccnz .LBB21_20
	s_branch .LBB21_23
.LBB21_18:                              ;   in Loop: Header=BB21_9 Depth=1
	s_andn2_b32 vcc_lo, exec_lo, s6
	s_cbranch_vccnz .LBB21_17
.LBB21_19:                              ;   in Loop: Header=BB21_9 Depth=1
	v_mov_b32_e32 v9, v5
	v_mov_b32_e32 v7, v6
	s_waitcnt vmcnt(0)
	v_mov_b32_e32 v8, v3
	s_add_i32 s1, s8, -1
	s_mov_b32 s16, s10
	s_cbranch_execz .LBB21_23
.LBB21_20:                              ;   in Loop: Header=BB21_9 Depth=1
	v_mov_b32_e32 v5, v9
	v_mov_b32_e32 v6, v7
	s_waitcnt vmcnt(0)
	v_mov_b32_e32 v3, v8
	s_mov_b32 s10, s16
	s_mov_b32 s8, s1
	s_branch .LBB21_9
.LBB21_21:
                                        ; implicit-def: $sgpr10_sgpr11
	s_load_dwordx4 s[12:15], s[4:5], 0x44
	s_branch .LBB21_2
.LBB21_22:
                                        ; implicit-def: $sgpr18_sgpr19
	s_branch .LBB21_5
.LBB21_23:
	v_div_scale_f32 v0, null, v9, v9, v8
	s_waitcnt vmcnt(0)
	v_rcp_f32_e32 v3, v0
	v_fma_f32 v4, -v0, v3, 1.0
	v_fmac_f32_e32 v3, v4, v3
	v_div_scale_f32 v4, vcc_lo, v8, v9, v8
	v_mul_f32_e32 v5, v4, v3
	v_fma_f32 v6, -v0, v5, v4
	v_fmac_f32_e32 v5, v6, v3
	v_fma_f32 v0, -v0, v5, v4
	v_div_fmas_f32 v0, v0, v3, v5
	v_div_fixup_f32 v0, v0, v9, v8
	global_store_dword v[1:2], v0, off
.LBB21_24:
	s_endpgm
	.section	.rodata,"a",@progbits
	.p2align	6, 0x0
	.amdhsa_kernel _ZL33flash_attn_stream_k_fixup_generalILi128ELi2ELi1EEvPfPK15HIP_vector_typeIfLj2EEiiiiS1_IjLj3EES5_S5_S5_
		.amdhsa_group_segment_fixed_size 0
		.amdhsa_private_segment_fixed_size 0
		.amdhsa_kernarg_size 336
		.amdhsa_user_sgpr_count 6
		.amdhsa_user_sgpr_private_segment_buffer 1
		.amdhsa_user_sgpr_dispatch_ptr 0
		.amdhsa_user_sgpr_queue_ptr 0
		.amdhsa_user_sgpr_kernarg_segment_ptr 1
		.amdhsa_user_sgpr_dispatch_id 0
		.amdhsa_user_sgpr_flat_scratch_init 0
		.amdhsa_user_sgpr_private_segment_size 0
		.amdhsa_wavefront_size32 1
		.amdhsa_uses_dynamic_stack 0
		.amdhsa_system_sgpr_private_segment_wavefront_offset 0
		.amdhsa_system_sgpr_workgroup_id_x 1
		.amdhsa_system_sgpr_workgroup_id_y 1
		.amdhsa_system_sgpr_workgroup_id_z 1
		.amdhsa_system_sgpr_workgroup_info 0
		.amdhsa_system_vgpr_workitem_id 0
		.amdhsa_next_free_vgpr 17
		.amdhsa_next_free_sgpr 31
		.amdhsa_reserve_vcc 1
		.amdhsa_reserve_flat_scratch 0
		.amdhsa_float_round_mode_32 0
		.amdhsa_float_round_mode_16_64 0
		.amdhsa_float_denorm_mode_32 3
		.amdhsa_float_denorm_mode_16_64 3
		.amdhsa_dx10_clamp 1
		.amdhsa_ieee_mode 1
		.amdhsa_fp16_overflow 0
		.amdhsa_workgroup_processor_mode 1
		.amdhsa_memory_ordered 1
		.amdhsa_forward_progress 1
		.amdhsa_shared_vgpr_count 0
		.amdhsa_exception_fp_ieee_invalid_op 0
		.amdhsa_exception_fp_denorm_src 0
		.amdhsa_exception_fp_ieee_div_zero 0
		.amdhsa_exception_fp_ieee_overflow 0
		.amdhsa_exception_fp_ieee_underflow 0
		.amdhsa_exception_fp_ieee_inexact 0
		.amdhsa_exception_int_div_zero 0
	.end_amdhsa_kernel
	.section	.text._ZL33flash_attn_stream_k_fixup_generalILi128ELi2ELi1EEvPfPK15HIP_vector_typeIfLj2EEiiiiS1_IjLj3EES5_S5_S5_,"axG",@progbits,_ZL33flash_attn_stream_k_fixup_generalILi128ELi2ELi1EEvPfPK15HIP_vector_typeIfLj2EEiiiiS1_IjLj3EES5_S5_S5_,comdat
.Lfunc_end21:
	.size	_ZL33flash_attn_stream_k_fixup_generalILi128ELi2ELi1EEvPfPK15HIP_vector_typeIfLj2EEiiiiS1_IjLj3EES5_S5_S5_, .Lfunc_end21-_ZL33flash_attn_stream_k_fixup_generalILi128ELi2ELi1EEvPfPK15HIP_vector_typeIfLj2EEiiiiS1_IjLj3EES5_S5_S5_
                                        ; -- End function
	.set _ZL33flash_attn_stream_k_fixup_generalILi128ELi2ELi1EEvPfPK15HIP_vector_typeIfLj2EEiiiiS1_IjLj3EES5_S5_S5_.num_vgpr, 17
	.set _ZL33flash_attn_stream_k_fixup_generalILi128ELi2ELi1EEvPfPK15HIP_vector_typeIfLj2EEiiiiS1_IjLj3EES5_S5_S5_.num_agpr, 0
	.set _ZL33flash_attn_stream_k_fixup_generalILi128ELi2ELi1EEvPfPK15HIP_vector_typeIfLj2EEiiiiS1_IjLj3EES5_S5_S5_.numbered_sgpr, 31
	.set _ZL33flash_attn_stream_k_fixup_generalILi128ELi2ELi1EEvPfPK15HIP_vector_typeIfLj2EEiiiiS1_IjLj3EES5_S5_S5_.num_named_barrier, 0
	.set _ZL33flash_attn_stream_k_fixup_generalILi128ELi2ELi1EEvPfPK15HIP_vector_typeIfLj2EEiiiiS1_IjLj3EES5_S5_S5_.private_seg_size, 0
	.set _ZL33flash_attn_stream_k_fixup_generalILi128ELi2ELi1EEvPfPK15HIP_vector_typeIfLj2EEiiiiS1_IjLj3EES5_S5_S5_.uses_vcc, 1
	.set _ZL33flash_attn_stream_k_fixup_generalILi128ELi2ELi1EEvPfPK15HIP_vector_typeIfLj2EEiiiiS1_IjLj3EES5_S5_S5_.uses_flat_scratch, 0
	.set _ZL33flash_attn_stream_k_fixup_generalILi128ELi2ELi1EEvPfPK15HIP_vector_typeIfLj2EEiiiiS1_IjLj3EES5_S5_S5_.has_dyn_sized_stack, 0
	.set _ZL33flash_attn_stream_k_fixup_generalILi128ELi2ELi1EEvPfPK15HIP_vector_typeIfLj2EEiiiiS1_IjLj3EES5_S5_S5_.has_recursion, 0
	.set _ZL33flash_attn_stream_k_fixup_generalILi128ELi2ELi1EEvPfPK15HIP_vector_typeIfLj2EEiiiiS1_IjLj3EES5_S5_S5_.has_indirect_call, 0
	.section	.AMDGPU.csdata,"",@progbits
; Kernel info:
; codeLenInByte = 2936
; TotalNumSgprs: 33
; NumVgprs: 17
; ScratchSize: 0
; MemoryBound: 0
; FloatMode: 240
; IeeeMode: 1
; LDSByteSize: 0 bytes/workgroup (compile time only)
; SGPRBlocks: 0
; VGPRBlocks: 2
; NumSGPRsForWavesPerEU: 33
; NumVGPRsForWavesPerEU: 17
; Occupancy: 16
; WaveLimiterHint : 0
; COMPUTE_PGM_RSRC2:SCRATCH_EN: 0
; COMPUTE_PGM_RSRC2:USER_SGPR: 6
; COMPUTE_PGM_RSRC2:TRAP_HANDLER: 0
; COMPUTE_PGM_RSRC2:TGID_X_EN: 1
; COMPUTE_PGM_RSRC2:TGID_Y_EN: 1
; COMPUTE_PGM_RSRC2:TGID_Z_EN: 1
; COMPUTE_PGM_RSRC2:TIDIG_COMP_CNT: 0
	.section	.text._ZL18flash_attn_ext_vecILi128ELi2EL9ggml_type2ELS0_8ELb1EEvPKcS2_S2_S2_S2_PKiPfP15HIP_vector_typeIfLj2EEffffjfiS6_IjLj3EEiiiiiiiiiiiliiliiiiil,"axG",@progbits,_ZL18flash_attn_ext_vecILi128ELi2EL9ggml_type2ELS0_8ELb1EEvPKcS2_S2_S2_S2_PKiPfP15HIP_vector_typeIfLj2EEffffjfiS6_IjLj3EEiiiiiiiiiiiliiliiiiil,comdat
	.globl	_ZL18flash_attn_ext_vecILi128ELi2EL9ggml_type2ELS0_8ELb1EEvPKcS2_S2_S2_S2_PKiPfP15HIP_vector_typeIfLj2EEffffjfiS6_IjLj3EEiiiiiiiiiiiliiliiiiil ; -- Begin function _ZL18flash_attn_ext_vecILi128ELi2EL9ggml_type2ELS0_8ELb1EEvPKcS2_S2_S2_S2_PKiPfP15HIP_vector_typeIfLj2EEffffjfiS6_IjLj3EEiiiiiiiiiiiliiliiiiil
	.p2align	8
	.type	_ZL18flash_attn_ext_vecILi128ELi2EL9ggml_type2ELS0_8ELb1EEvPKcS2_S2_S2_S2_PKiPfP15HIP_vector_typeIfLj2EEffffjfiS6_IjLj3EEiiiiiiiiiiiliiliiiiil,@function
_ZL18flash_attn_ext_vecILi128ELi2EL9ggml_type2ELS0_8ELb1EEvPKcS2_S2_S2_S2_PKiPfP15HIP_vector_typeIfLj2EEffffjfiS6_IjLj3EEiiiiiiiiiiiliiliiiiil: ; @_ZL18flash_attn_ext_vecILi128ELi2EL9ggml_type2ELS0_8ELb1EEvPKcS2_S2_S2_S2_PKiPfP15HIP_vector_typeIfLj2EEffffjfiS6_IjLj3EEiiiiiiiiiiiliiliiiiil
; %bb.0:
	s_clause 0x2
	s_load_dwordx2 s[36:37], s[6:7], 0x64
	s_load_dwordx2 s[42:43], s[6:7], 0x80
	;; [unrolled: 1-line block ×3, first 2 shown]
	s_mov_b32 s34, s9
	s_clause 0x1
	s_load_dwordx4 s[28:31], s[6:7], 0x40
	s_load_dwordx2 s[40:41], s[6:7], 0x50
	v_mov_b32_e32 v77, 1.0
	s_waitcnt lgkmcnt(0)
	v_cvt_f32_u32_e32 v3, s37
	s_sub_i32 s1, 0, s37
	v_rcp_iflag_f32_e32 v3, v3
	v_mul_f32_e32 v3, 0x4f7ffffe, v3
	v_cvt_u32_f32_e32 v3, v3
	v_readfirstlane_b32 s0, v3
	s_mul_i32 s1, s1, s0
	s_mul_hi_u32 s1, s0, s1
	s_add_i32 s0, s0, s1
	s_mul_hi_u32 s0, s10, s0
	s_mul_i32 s1, s0, s37
	s_add_i32 s2, s0, 1
	s_sub_i32 s1, s10, s1
	s_sub_i32 s3, s1, s37
	s_cmp_ge_u32 s1, s37
	s_cselect_b32 s0, s2, s0
	s_cselect_b32 s1, s3, s1
	s_add_i32 s2, s0, 1
	s_cmp_ge_u32 s1, s37
	s_cselect_b32 s33, s2, s0
	s_abs_i32 s0, s43
	s_abs_i32 s9, s37
	v_cvt_f32_u32_e32 v3, s0
	s_sub_i32 s2, 0, s0
	s_xor_b32 s3, s37, s43
	s_ashr_i32 s3, s3, 31
	v_rcp_iflag_f32_e32 v3, v3
	v_mul_f32_e32 v3, 0x4f7ffffe, v3
	v_cvt_u32_f32_e32 v3, v3
	v_readfirstlane_b32 s1, v3
	s_mul_i32 s2, s2, s1
	s_mul_hi_u32 s2, s1, s2
	s_add_i32 s1, s1, s2
	s_mul_i32 s2, s33, s37
	s_mul_hi_u32 s1, s9, s1
	s_sub_i32 s38, s10, s2
	s_mul_i32 s11, s1, s0
	s_sub_i32 s2, s9, s11
	s_add_i32 s9, s1, 1
	s_sub_i32 s10, s2, s0
	s_cmp_ge_u32 s2, s0
	s_cselect_b32 s1, s9, s1
	s_cselect_b32 s2, s10, s2
	s_add_i32 s9, s1, 1
	s_cmp_ge_u32 s2, s0
	s_cselect_b32 s0, s9, s1
	s_abs_i32 s35, s44
	s_xor_b32 s0, s0, s3
	v_cvt_f32_u32_e32 v3, s35
	s_sub_i32 s43, s0, s3
	v_cmp_le_f32_e64 s0, s29, 0
	s_abs_i32 s39, s43
	v_cvt_f32_u32_e32 v4, s39
	v_rcp_iflag_f32_e32 v3, v3
	s_and_b32 vcc_lo, exec_lo, s0
	v_rcp_iflag_f32_e32 v4, v4
	v_mul_f32_e32 v3, 0x4f7ffffe, v3
	v_mul_f32_e32 v4, 0x4f7ffffe, v4
	v_cvt_u32_f32_e32 v3, v3
	v_cvt_u32_f32_e32 v4, v4
	v_readfirstlane_b32 s29, v3
	v_readfirstlane_b32 s44, v4
	s_cbranch_vccnz .LBB22_2
; %bb.1:
	v_sub_co_u32 v4, vcc_lo, s38, s40
	v_mov_b32_e32 v3, s30
	s_add_i32 s0, s38, 1
	v_lshlrev_b32_e32 v4, 1, v4
	v_cndmask_b32_e32 v3, s31, v3, vcc_lo
	v_or_b32_e32 v4, 1, v4
	v_cndmask_b32_e64 v4, v4, s0, vcc_lo
	v_cmp_neq_f32_e32 vcc_lo, 1.0, v3
	s_mov_b32 s0, 0x3e76c4e1
	v_cvt_f32_i32_e32 v4, v4
	v_cndmask_b32_e32 v5, 1.0, v4, vcc_lo
	v_cmp_neq_f32_e32 vcc_lo, 0, v5
	v_cndmask_b32_e32 v6, 1.0, v3, vcc_lo
	v_frexp_mant_f32_e64 v3, |v6|
	v_cmp_eq_f32_e64 s2, 0, v6
	v_cmp_gt_f32_e32 vcc_lo, 0x3f2aaaab, v3
	v_cndmask_b32_e64 v4, 1.0, 2.0, vcc_lo
	v_mul_f32_e32 v3, v3, v4
	v_add_f32_e32 v4, 1.0, v3
	v_add_f32_e32 v8, -1.0, v3
	v_rcp_f32_e32 v7, v4
	v_add_f32_e32 v10, -1.0, v4
	v_sub_f32_e32 v3, v3, v10
	v_mul_f32_e32 v9, v8, v7
	v_mul_f32_e32 v11, v4, v9
	v_fma_f32 v4, v9, v4, -v11
	v_fmac_f32_e32 v4, v9, v3
	v_add_f32_e32 v3, v11, v4
	v_sub_f32_e32 v10, v8, v3
	v_sub_f32_e32 v11, v3, v11
	;; [unrolled: 1-line block ×5, first 2 shown]
	v_add_f32_e32 v3, v4, v3
	v_add_f32_e32 v3, v10, v3
	v_mul_f32_e32 v3, v7, v3
	v_add_f32_e32 v7, v9, v3
	v_sub_f32_e32 v4, v7, v9
	v_mul_f32_e32 v8, v7, v7
	v_sub_f32_e32 v9, v3, v4
	v_fma_f32 v3, v7, v7, -v8
	v_add_f32_e32 v4, v9, v9
	v_fmac_f32_e32 v3, v7, v4
	v_add_f32_e32 v10, v8, v3
	v_fmaak_f32 v4, s0, v10, 0x3e91f4c4
	v_sub_f32_e32 v8, v10, v8
	v_mul_f32_e32 v15, v7, v10
	v_fmaak_f32 v4, v10, v4, 0x3ecccdef
	v_sub_f32_e32 v8, v3, v8
	v_fma_f32 v16, v10, v7, -v15
	v_mul_f32_e32 v11, v10, v4
	v_fmac_f32_e32 v16, v10, v9
	v_ldexp_f32 v9, v9, 1
	v_fma_f32 v12, v10, v4, -v11
	v_fmac_f32_e32 v16, v8, v7
	v_fmac_f32_e32 v12, v8, v4
	v_cvt_f64_f32_e64 v[3:4], |v6|
	v_add_f32_e32 v13, v11, v12
	v_sub_f32_e32 v11, v13, v11
	v_add_f32_e32 v14, 0x3f2aaaaa, v13
	v_sub_f32_e32 v11, v12, v11
	v_add_f32_e32 v12, 0xbf2aaaaa, v14
	v_add_f32_e32 v11, 0x31739010, v11
	v_sub_f32_e32 v12, v13, v12
	v_frexp_exp_i32_f64_e32 v3, v[3:4]
	v_add_f32_e32 v10, v11, v12
	v_add_f32_e32 v11, v15, v16
	;; [unrolled: 1-line block ×3, first 2 shown]
	v_sub_f32_e32 v13, v11, v15
	v_sub_f32_e32 v4, v14, v8
	v_mul_f32_e32 v12, v11, v8
	v_sub_f32_e32 v13, v16, v13
	v_add_f32_e32 v4, v10, v4
	v_fma_f32 v10, v11, v8, -v12
	v_subrev_co_ci_u32_e64 v3, null, 0, v3, vcc_lo
	v_fmac_f32_e32 v10, v11, v4
	v_ldexp_f32 v4, v7, 1
	v_cvt_f32_i32_e32 v3, v3
	v_fmac_f32_e32 v10, v13, v8
	v_add_f32_e32 v7, v12, v10
	v_add_f32_e32 v8, v4, v7
	v_sub_f32_e32 v11, v7, v12
	v_mul_f32_e32 v12, 0x3f317218, v3
	v_sub_f32_e32 v4, v8, v4
	v_sub_f32_e32 v10, v10, v11
	v_fma_f32 v11, 0x3f317218, v3, -v12
	v_sub_f32_e32 v4, v7, v4
	v_add_f32_e32 v7, v9, v10
	v_fmamk_f32 v3, v3, 0xb102e308, v11
	v_add_f32_e32 v4, v7, v4
	v_add_f32_e32 v7, v12, v3
	;; [unrolled: 1-line block ×3, first 2 shown]
	v_sub_f32_e32 v12, v7, v12
	v_add_f32_e32 v10, v7, v9
	v_sub_f32_e32 v8, v9, v8
	v_sub_f32_e32 v3, v3, v12
	;; [unrolled: 1-line block ×6, first 2 shown]
	v_add_f32_e32 v9, v3, v4
	v_sub_f32_e32 v7, v7, v13
	v_add_f32_e32 v7, v8, v7
	v_sub_f32_e32 v8, v9, v3
	;; [unrolled: 2-line block ×3, first 2 shown]
	v_sub_f32_e32 v4, v4, v8
	v_add_f32_e32 v11, v10, v7
	v_sub_f32_e32 v3, v3, v9
	v_sub_f32_e32 v8, v11, v10
	v_add_f32_e32 v3, v4, v3
	v_sub_f32_e32 v4, v7, v8
	v_add_f32_e32 v3, v3, v4
	v_add_f32_e32 v4, v11, v3
	v_sub_f32_e32 v7, v4, v11
	v_mul_f32_e32 v8, v5, v4
	v_sub_f32_e32 v3, v3, v7
	v_fma_f32 v4, v5, v4, -v8
	v_cmp_class_f32_e64 vcc_lo, v8, 0x204
	v_fmac_f32_e32 v4, v5, v3
	v_add_f32_e32 v3, v8, v4
	v_cndmask_b32_e32 v7, v3, v8, vcc_lo
	v_sub_f32_e32 v3, v3, v8
	v_cmp_eq_f32_e32 vcc_lo, 0x42b17218, v7
	v_sub_f32_e32 v3, v4, v3
	v_cndmask_b32_e64 v9, 0, 0x37000000, vcc_lo
	v_cmp_neq_f32_e64 vcc_lo, 0x7f800000, |v7|
	v_sub_f32_e32 v10, v7, v9
	v_cndmask_b32_e32 v3, 0, v3, vcc_lo
	v_trunc_f32_e32 v7, v5
	v_mul_f32_e32 v11, 0x3fb8aa3b, v10
	v_cmp_ngt_f32_e32 vcc_lo, 0xc2ce8ed0, v10
	v_add_f32_e32 v3, v9, v3
	v_fma_f32 v12, 0x3fb8aa3b, v10, -v11
	v_rndne_f32_e32 v13, v11
	v_fmamk_f32 v12, v10, 0x32a5705f, v12
	v_sub_f32_e32 v11, v11, v13
	v_cvt_i32_f32_e32 v8, v13
	v_add_f32_e32 v11, v11, v12
	v_exp_f32_e32 v11, v11
	v_ldexp_f32 v4, v11, v8
	v_mul_f32_e32 v8, 0.5, v5
	v_cndmask_b32_e32 v4, 0, v4, vcc_lo
	v_cmp_nlt_f32_e32 vcc_lo, 0x42b17218, v10
	v_trunc_f32_e32 v11, v8
	v_cndmask_b32_e32 v4, 0x7f800000, v4, vcc_lo
	v_cmp_eq_f32_e32 vcc_lo, v7, v5
	v_cmp_neq_f32_e64 s0, v11, v8
	v_fma_f32 v3, v4, v3, v4
	v_cmp_class_f32_e64 s1, v4, 0x204
	s_and_b32 s0, vcc_lo, s0
	v_cndmask_b32_e64 v7, 1.0, v6, s0
	v_cndmask_b32_e64 v3, v3, v4, s1
	v_cmp_gt_f32_e64 s1, 0, v5
	v_bfi_b32 v3, 0x7fffffff, v3, v7
	s_xor_b32 s1, s1, s2
	v_cndmask_b32_e64 v7, 0, v6, s0
	v_cndmask_b32_e64 v4, 0x7f800000, 0, s1
	v_cmp_class_f32_e64 s0, v6, 0x204
	v_cndmask_b32_e32 v5, 0x7fc00000, v3, vcc_lo
	v_cmp_gt_f32_e32 vcc_lo, 0, v6
	v_bfi_b32 v4, 0x7fffffff, v4, v7
	v_cndmask_b32_e32 v3, v3, v5, vcc_lo
	s_or_b32 vcc_lo, s2, s0
	v_cndmask_b32_e32 v3, v3, v4, vcc_lo
	v_cmp_o_f32_e32 vcc_lo, v6, v6
	v_cndmask_b32_e32 v77, 0x7fc00000, v3, vcc_lo
.LBB22_2:
	s_load_dwordx2 s[0:1], s[4:5], 0x4
	s_load_dwordx16 s[12:27], s[6:7], 0x0
	v_mov_b32_e32 v14, 0
	v_lshlrev_b32_e32 v72, 8, v1
	v_lshlrev_b32_e32 v74, 2, v0
	s_lshl_b32 s30, s8, 1
	s_mov_b32 s4, exec_lo
	s_waitcnt lgkmcnt(0)
	v_mul_u32_u24_e32 v3, s1, v1
	s_lshr_b32 s0, s0, 16
	s_mul_i32 s0, s0, s1
	v_mad_u32_u24 v3, s0, v0, v3
	v_cmp_lt_u32_e64 s0, 1, v1
	v_add_lshl_u32 v20, v3, v2, 4
	v_add_nc_u32_e32 v2, 0x604, v20
	v_add_nc_u32_e32 v3, 0x400, v20
	ds_write2_b32 v2, v14, v14 offset1:1
	ds_write2_b32 v3, v14, v14 offset0:128 offset1:131
	v_cmpx_gt_u32_e32 2, v1
	s_cbranch_execz .LBB22_13
; %bb.3:
	v_or_b32_e32 v2, s30, v1
	v_add_nc_u32_e32 v3, v72, v74
	s_mov_b32 s1, exec_lo
	v_cmpx_le_i32_e64 s36, v2
	s_xor_b32 s1, exec_lo, s1
	s_cbranch_execz .LBB22_7
; %bb.4:
	v_mov_b32_e32 v2, 0
	s_mov_b32 s2, exec_lo
	ds_write_b32 v3, v2
	v_cmpx_gt_u32_e32 4, v0
; %bb.5:
	v_add_nc_u32_e32 v4, v3, v74
	v_mov_b32_e32 v3, v2
	ds_write_b64 v4, v[2:3] offset:128
; %bb.6:
	s_or_b32 exec_lo, exec_lo, s2
                                        ; implicit-def: $vgpr3
.LBB22_7:
	s_andn2_saveexec_b32 s1, s1
	s_cbranch_execz .LBB22_13
; %bb.8:
	s_load_dwordx4 s[48:51], s[6:7], 0x70
	v_lshlrev_b32_e32 v4, 2, v74
	s_mov_b32 s5, exec_lo
	s_waitcnt lgkmcnt(0)
	v_mul_lo_u32 v2, s48, v1
	s_mul_i32 s1, s33, s50
	s_mul_i32 s2, s48, s30
	s_mul_i32 s3, s38, s49
	s_add_i32 s1, s1, s2
	s_add_i32 s1, s1, s3
	s_ashr_i32 s2, s1, 31
	v_ashrrev_i32_e32 v5, 31, v2
	s_add_u32 s1, s12, s1
	s_addc_u32 s2, s13, s2
	v_add_co_u32 v2, vcc_lo, s1, v2
	v_add_co_ci_u32_e64 v5, null, s2, v5, vcc_lo
	v_add_co_u32 v4, vcc_lo, v2, v4
	v_add_co_ci_u32_e64 v5, null, 0, v5, vcc_lo
	v_mbcnt_lo_u32_b32 v2, -1, 0
	global_load_dwordx4 v[10:13], v[4:5], off
	v_xor_b32_e32 v5, 4, v2
	v_xor_b32_e32 v15, 2, v2
	;; [unrolled: 1-line block ×3, first 2 shown]
	v_cmp_gt_i32_e32 vcc_lo, 32, v5
	v_cndmask_b32_e32 v5, v2, v5, vcc_lo
	v_cmp_gt_i32_e32 vcc_lo, 32, v15
	v_lshlrev_b32_e32 v5, 2, v5
	v_cndmask_b32_e32 v15, v2, v15, vcc_lo
	v_cmp_gt_i32_e32 vcc_lo, 32, v16
	v_lshlrev_b32_e32 v15, 2, v15
	v_cndmask_b32_e32 v2, v2, v16, vcc_lo
	v_lshlrev_b32_e32 v2, 2, v2
	s_waitcnt vmcnt(0)
	v_mul_f32_e32 v4, s28, v10
	v_mul_f32_e32 v6, s28, v11
	v_mul_f32_e32 v9, s28, v12
	v_mul_f32_e32 v8, s28, v13
	v_max_f32_e64 v7, |v4|, |v6|
	v_fma_f32 v10, s28, v10, v6
	v_max3_f32 v7, v7, |v9|, |v8|
	v_fmac_f32_e32 v10, s28, v12
	ds_bpermute_b32 v11, v5, v7
	v_fmac_f32_e32 v10, s28, v13
	ds_bpermute_b32 v5, v5, v10
	s_waitcnt lgkmcnt(1)
	v_max_f32_e32 v11, v11, v11
	v_max_f32_e32 v7, v7, v11
	s_waitcnt lgkmcnt(0)
	v_add_f32_e32 v5, v10, v5
	ds_bpermute_b32 v11, v15, v7
	ds_bpermute_b32 v10, v15, v5
	s_waitcnt lgkmcnt(1)
	v_max_f32_e32 v11, v11, v11
	s_waitcnt lgkmcnt(0)
	v_add_f32_e32 v5, v5, v10
	v_mov_b32_e32 v10, 0
	v_max_f32_e32 v7, v7, v11
	ds_bpermute_b32 v11, v2, v7
	s_waitcnt lgkmcnt(0)
	v_max_f32_e32 v11, v11, v11
	v_max_f32_e32 v11, v7, v11
	v_div_scale_f32 v12, null, 0x42fe0000, 0x42fe0000, v11
	v_div_scale_f32 v15, vcc_lo, v11, 0x42fe0000, v11
	v_rcp_f32_e32 v13, v12
	v_fma_f32 v7, -v12, v13, 1.0
	v_fmac_f32_e32 v13, v7, v13
	v_mul_f32_e32 v16, v15, v13
	v_fma_f32 v7, -v12, v16, v15
	v_fmac_f32_e32 v16, v7, v13
	ds_bpermute_b32 v7, v2, v5
	v_fma_f32 v2, -v12, v16, v15
	v_div_fmas_f32 v2, v2, v13, v16
	v_div_fixup_f32 v2, v2, 0x42fe0000, v11
	v_cmpx_neq_f32_e32 0, v2
	s_cbranch_execz .LBB22_10
; %bb.9:
	v_div_scale_f32 v10, null, v2, v2, v4
	v_div_scale_f32 v11, null, v2, v2, v6
	;; [unrolled: 1-line block ×3, first 2 shown]
	v_rcp_f32_e32 v12, v10
	v_div_scale_f32 v15, null, v2, v2, v8
	v_rcp_f32_e32 v16, v11
	v_rcp_f32_e32 v17, v13
	v_div_scale_f32 v22, vcc_lo, v4, v2, v4
	v_rcp_f32_e32 v18, v15
	v_fma_f32 v19, -v10, v12, 1.0
	v_fma_f32 v21, -v11, v16, 1.0
	;; [unrolled: 1-line block ×3, first 2 shown]
	v_fmac_f32_e32 v12, v19, v12
	v_div_scale_f32 v19, s1, v6, v2, v6
	v_fma_f32 v24, -v15, v18, 1.0
	v_fmac_f32_e32 v16, v21, v16
	v_fmac_f32_e32 v17, v23, v17
	v_div_scale_f32 v21, s2, v9, v2, v9
	v_fmac_f32_e32 v18, v24, v18
	v_mul_f32_e32 v24, v22, v12
	v_mul_f32_e32 v25, v19, v16
	;; [unrolled: 1-line block ×3, first 2 shown]
	v_div_scale_f32 v23, s3, v8, v2, v8
	v_fma_f32 v28, -v10, v24, v22
	v_fma_f32 v29, -v11, v25, v19
	;; [unrolled: 1-line block ×3, first 2 shown]
	v_mul_f32_e32 v27, v23, v18
	v_fmac_f32_e32 v24, v28, v12
	v_fmac_f32_e32 v25, v29, v16
	;; [unrolled: 1-line block ×3, first 2 shown]
	v_fma_f32 v31, -v15, v27, v23
	v_fma_f32 v10, -v10, v24, v22
	;; [unrolled: 1-line block ×4, first 2 shown]
	v_fmac_f32_e32 v27, v31, v18
	v_div_fmas_f32 v10, v10, v12, v24
	s_mov_b32 vcc_lo, s1
	v_div_fmas_f32 v11, v11, v16, v25
	s_mov_b32 vcc_lo, s2
	v_div_fixup_f32 v4, v10, v2, v4
	v_div_fmas_f32 v12, v13, v17, v26
	v_fma_f32 v13, -v15, v27, v23
	s_mov_b32 vcc_lo, s3
	v_div_fixup_f32 v6, v11, v2, v6
	v_div_fixup_f32 v9, v12, v2, v9
	v_div_fmas_f32 v12, v13, v18, v27
	v_trunc_f32_e32 v11, v6
	v_trunc_f32_e32 v13, v9
	v_div_fixup_f32 v8, v12, v2, v8
	v_trunc_f32_e32 v12, v4
	v_sub_f32_e32 v16, v6, v11
	v_sub_f32_e32 v10, v9, v13
	v_trunc_f32_e32 v15, v8
	v_sub_f32_e32 v18, v4, v12
	v_cmp_ge_f32_e64 s1, |v10|, 0.5
	v_sub_f32_e32 v17, v8, v15
	v_cndmask_b32_e64 v10, 0, 1.0, s1
	v_cmp_ge_f32_e64 s1, |v16|, 0.5
	v_bfi_b32 v9, 0x7fffffff, v10, v9
	v_cndmask_b32_e64 v10, 0, 1.0, s1
	v_cmp_ge_f32_e64 s1, |v17|, 0.5
	v_add_f32_e32 v9, v13, v9
	v_bfi_b32 v6, 0x7fffffff, v10, v6
	v_cndmask_b32_e64 v16, 0, 1.0, s1
	v_cmp_ge_f32_e64 s1, |v18|, 0.5
	v_mov_b32_e32 v10, 8
	v_cvt_i32_f32_e32 v9, v9
	v_add_f32_e32 v6, v11, v6
	v_bfi_b32 v8, 0x7fffffff, v16, v8
	v_cndmask_b32_e64 v13, 0, 1.0, s1
	v_and_b32_e32 v9, 0xff, v9
	v_cvt_i32_f32_e32 v6, v6
	v_add_f32_e32 v8, v15, v8
	v_bfi_b32 v4, 0x7fffffff, v13, v4
	v_lshlrev_b32_e32 v9, 16, v9
	v_lshlrev_b32_sdwa v6, v10, v6 dst_sel:DWORD dst_unused:UNUSED_PAD src0_sel:DWORD src1_sel:BYTE_0
	v_cvt_i32_f32_e32 v8, v8
	v_add_f32_e32 v4, v12, v4
	v_lshl_or_b32 v8, v8, 24, v9
	v_cvt_i32_f32_e32 v4, v4
	v_and_b32_e32 v4, 0xff, v4
	v_or3_b32 v10, v8, v6, v4
.LBB22_10:
	s_or_b32 exec_lo, exec_lo, s5
	v_and_b32_e32 v4, 7, v0
	s_mov_b32 s1, exec_lo
	ds_write_b32 v3, v10
	v_cmpx_eq_u32_e32 0, v4
	s_cbranch_execz .LBB22_12
; %bb.11:
	s_waitcnt lgkmcnt(1)
	v_add_f32_e32 v3, v5, v7
	v_add_nc_u32_e32 v4, v72, v0
	ds_write_b64 v4, v[2:3] offset:128
.LBB22_12:
	s_or_b32 exec_lo, exec_lo, s1
.LBB22_13:
	s_or_b32 exec_lo, exec_lo, s4
	v_and_b32_e32 v21, 1, v0
	s_waitcnt lgkmcnt(0)
	s_barrier
	buffer_gl0_inv
	s_cmp_eq_u64 s[22:23], 0
	v_lshlrev_b32_e32 v18, 2, v21
	s_mov_b32 s31, s42
	ds_read_b128 v[2:5], v14 offset:128
	ds_read_b128 v[6:9], v14 offset:144
	ds_read2_b32 v[38:39], v18 offset1:2
	ds_read2_b32 v[40:41], v18 offset0:4 offset1:6
	ds_read2_b32 v[42:43], v18 offset0:8 offset1:10
	;; [unrolled: 1-line block ×12, first 2 shown]
	ds_read_b128 v[10:13], v14 offset:384
	ds_read_b128 v[14:17], v14 offset:400
	ds_read2_b32 v[64:65], v18 offset0:84 offset1:86
	ds_read2_b32 v[66:67], v18 offset0:88 offset1:90
	;; [unrolled: 1-line block ×3, first 2 shown]
	s_waitcnt lgkmcnt(0)
	s_barrier
	buffer_gl0_inv
	s_cbranch_scc1 .LBB22_15
; %bb.14:
	s_load_dword s1, s[6:7], 0xd0
	s_mov_b32 s3, 0
	s_waitcnt lgkmcnt(0)
	s_mul_i32 s1, s1, s33
	s_add_i32 s2, s1, s8
	s_lshl_b64 s[2:3], s[2:3], 2
	s_add_u32 s2, s22, s2
	s_addc_u32 s3, s23, s3
	s_load_dword s31, s[2:3], 0x0
.LBB22_15:
	v_lshlrev_b32_e32 v19, 5, v1
	v_add_nc_u32_e32 v76, 0x600, v20
	v_mbcnt_lo_u32_b32 v78, -1, 0
	s_lshl_b32 s2, s34, 7
	s_mov_b32 s3, 0
	v_add_nc_u32_e32 v73, v19, v0
	s_waitcnt lgkmcnt(0)
	s_cmp_ge_i32 s2, s31
	v_lshlrev_b32_e32 v75, 1, v73
	s_cbranch_scc1 .LBB22_43
; %bb.16:
	s_clause 0x1
	s_load_dwordx4 s[8:11], s[6:7], 0x98
	s_load_dwordx2 s[12:13], s[6:7], 0x8c
	s_sub_i32 s1, 0, s39
	s_sub_i32 s4, 0, s35
	s_mul_i32 s1, s1, s44
	s_abs_i32 s22, s38
	s_mul_hi_u32 s1, s44, s1
	s_mul_i32 s4, s4, s29
	s_add_i32 s44, s44, s1
	s_ashr_i32 s23, s38, 31
	s_ashr_i32 s40, s43, 31
	;; [unrolled: 1-line block ×3, first 2 shown]
	s_mul_hi_u32 s1, s29, s4
	s_mul_hi_u32 s4, s22, s44
	s_xor_b32 s43, s23, s40
	s_add_i32 s29, s29, s1
	s_mul_i32 s1, s4, s39
	s_abs_i32 s28, s33
	s_sub_i32 s1, s22, s1
	s_add_i32 s23, s4, 1
	s_waitcnt lgkmcnt(0)
	s_mul_hi_u32 s40, s8, s33
	s_mul_i32 s44, s8, s5
	s_mul_i32 s9, s9, s33
	s_add_i32 s40, s40, s44
	v_and_b32_e32 v20, 0x7e, v0
	s_add_i32 s40, s40, s9
	s_sub_i32 s9, s1, s39
	s_cmp_ge_u32 s1, s39
	v_bfe_u32 v26, v0, 3, 27
	s_cselect_b32 s4, s23, s4
	s_cselect_b32 s1, s9, s1
	s_add_i32 s9, s4, 1
	s_cmp_ge_u32 s1, s39
	s_load_dwordx2 s[22:23], s[6:7], 0xc8
	s_cselect_b32 s1, s9, s4
	s_mul_hi_u32 s4, s28, s29
	s_xor_b32 s1, s1, s43
	s_mul_i32 s4, s4, s35
	s_sub_i32 s46, s1, s43
	s_sub_i32 s1, s28, s4
	s_mul_i32 s43, s46, s13
	s_mul_i32 s46, s46, s11
	s_ashr_i32 s44, s43, 31
	s_ashr_i32 s47, s46, 31
	s_sub_i32 s4, s1, s35
	s_cmp_ge_u32 s1, s35
	s_mul_i32 s11, s45, s30
	s_cselect_b32 s1, s4, s1
	s_clause 0x1
	s_load_dword s4, s[6:7], 0xd4
	s_load_dwordx2 s[28:29], s[6:7], 0xa8
	s_sub_i32 s9, s1, s35
	s_cmp_ge_u32 s1, s35
	v_add_nc_u32_e32 v20, v19, v20
	s_cselect_b32 s1, s9, s1
	v_mul_hi_u32_u24_e32 v27, 34, v26
	s_xor_b32 s1, s1, s5
	v_mul_u32_u24_e32 v26, 34, v26
	s_sub_i32 s1, s1, s5
	v_add_nc_u32_e32 v22, s42, v20
	s_ashr_i32 s9, s1, 31
	s_waitcnt lgkmcnt(0)
	s_mul_hi_u32 s13, s22, s1
	s_mul_i32 s9, s22, s9
	s_mul_i32 s23, s23, s1
	s_add_i32 s45, s13, s9
	s_ashr_i32 s13, s11, 31
	s_add_i32 s45, s45, s23
	s_cmp_lg_u64 s[18:19], 0
	s_mul_i32 s48, s22, s1
	s_cselect_b32 s9, -1, 0
	s_lshl_b32 s4, s4, 7
	s_cmp_lt_i32 s30, s36
	v_ashrrev_i32_e32 v23, 31, v22
	s_cselect_b32 s1, -1, 0
	v_mul_lo_u32 v28, v19, s10
	s_and_b32 s35, s9, s1
	s_or_b32 s1, s30, 1
	v_mad_u64_u32 v[32:33], null, s28, s33, v[26:27]
	s_cmp_lt_i32 s1, s36
	v_lshlrev_b64 v[22:23], 1, v[22:23]
	s_cselect_b32 s22, -1, 0
	s_mul_i32 s29, s29, s33
	s_and_b32 s39, s9, s22
	s_ashr_i32 s9, s42, 31
	v_add_co_u32 v24, s22, s42, v20
	v_add_co_ci_u32_e64 v25, null, s9, 0, s22
	s_add_u32 s49, s14, s43
	s_addc_u32 s42, s15, s44
	s_lshl_b64 s[22:23], s[2:3], 1
	v_lshlrev_b64 v[24:25], 1, v[24:25]
	s_add_u32 s9, s18, s22
	s_addc_u32 s50, s19, s23
	s_add_u32 s9, s9, s48
	s_mul_i32 s5, s28, s5
	s_addc_u32 s50, s50, s45
	v_add_co_u32 v79, vcc_lo, s9, v22
	v_and_b32_e32 v29, 28, v74
	v_ashrrev_i32_e32 v30, 31, v28
	v_add3_u32 v33, s5, s29, v33
	v_add_co_ci_u32_e64 v80, null, s50, v23, vcc_lo
	v_add_co_u32 v24, vcc_lo, s9, v24
	v_add_nc_u32_e32 v26, 31, v19
	v_cmp_eq_u32_e64 s1, 0, v21
	v_add_nc_u32_e32 v21, s10, v28
	v_add_co_ci_u32_e64 v25, null, s50, v25, vcc_lo
	v_add_co_u32 v22, vcc_lo, v32, v28
	v_add_co_ci_u32_e64 v23, null, v33, v30, vcc_lo
	v_add_co_u32 v29, vcc_lo, v32, v29
	v_mul_lo_u32 v35, s10, v26
	v_add_co_ci_u32_e64 v34, null, 0, v33, vcc_lo
	v_add_nc_u32_e32 v83, s10, v21
	v_add_co_u32 v26, vcc_lo, v29, v28
	v_add_nc_u32_e32 v36, 30, v19
	v_add_co_ci_u32_e64 v27, null, v34, v30, vcc_lo
	v_add_co_u32 v31, vcc_lo, v29, s46
	v_add_nc_u32_e32 v86, s10, v83
	v_add_co_ci_u32_e64 v30, null, s47, v34, vcc_lo
	v_ashrrev_i32_e32 v34, 31, v35
	v_add_nc_u32_e32 v37, 29, v19
	v_mul_lo_u32 v36, s10, v36
	v_add_co_u32 v28, vcc_lo, v31, v35
	v_add_nc_u32_e32 v87, s10, v86
	v_add_nc_u32_e32 v71, 28, v19
	v_add_co_ci_u32_e64 v29, null, v30, v34, vcc_lo
	v_add_co_u32 v84, vcc_lo, v32, s46
	v_mul_lo_u32 v81, s10, v37
	v_add_co_ci_u32_e64 v85, null, s47, v33, vcc_lo
	v_add_nc_u32_e32 v88, s10, v87
	v_ashrrev_i32_e32 v70, 31, v36
	v_mul_lo_u32 v89, s10, v71
	v_add_co_u32 v32, vcc_lo, v84, v35
	v_add_co_ci_u32_e64 v33, null, v85, v34, vcc_lo
	v_add_co_u32 v34, vcc_lo, v31, v36
	v_add_nc_u32_e32 v91, 27, v19
	v_ashrrev_i32_e32 v82, 31, v81
	v_add_nc_u32_e32 v90, s10, v88
	v_add_co_ci_u32_e64 v35, null, v30, v70, vcc_lo
	v_add_co_u32 v36, vcc_lo, v84, v36
	v_add_co_ci_u32_e64 v37, null, v85, v70, vcc_lo
	v_add_co_u32 v70, vcc_lo, v31, v81
	v_ashrrev_i32_e32 v93, 31, v89
	v_mul_lo_u32 v91, s10, v91
	v_add_co_ci_u32_e64 v71, null, v30, v82, vcc_lo
	v_add_nc_u32_e32 v92, s10, v90
	v_add_co_u32 v81, vcc_lo, v84, v81
	v_add_nc_u32_e32 v95, 26, v19
	v_add_co_ci_u32_e64 v82, null, v85, v82, vcc_lo
	v_add_co_u32 v117, vcc_lo, v31, v89
	v_add_co_ci_u32_e64 v118, null, v30, v93, vcc_lo
	v_add_co_u32 v119, vcc_lo, v84, v89
	v_add_nc_u32_e32 v94, s10, v92
	v_add_co_ci_u32_e64 v120, null, v85, v93, vcc_lo
	v_mul_lo_u32 v93, s10, v95
	v_ashrrev_i32_e32 v89, 31, v91
	v_add_nc_u32_e32 v97, 25, v19
	v_add_nc_u32_e32 v96, s10, v94
	v_add_co_u32 v121, vcc_lo, v31, v91
	v_add_co_ci_u32_e64 v122, null, v30, v89, vcc_lo
	v_add_co_u32 v123, vcc_lo, v84, v91
	v_mul_lo_u32 v91, s10, v97
	v_add_co_ci_u32_e64 v124, null, v85, v89, vcc_lo
	v_ashrrev_i32_e32 v89, 31, v93
	v_add_nc_u32_e32 v95, s10, v96
	v_add_co_u32 v125, vcc_lo, v31, v93
	v_add_nc_u32_e32 v101, 24, v19
	v_add_co_ci_u32_e64 v126, null, v30, v89, vcc_lo
	v_add_co_u32 v127, vcc_lo, v84, v93
	v_add_nc_u32_e32 v98, s10, v95
	v_add_co_ci_u32_e64 v128, null, v85, v89, vcc_lo
	v_ashrrev_i32_e32 v89, 31, v91
	v_add_co_u32 v129, vcc_lo, v31, v91
	v_add_nc_u32_e32 v97, s10, v98
	v_add_nc_u32_e32 v93, 23, v19
	v_add_co_ci_u32_e64 v130, null, v30, v89, vcc_lo
	v_add_co_u32 v131, vcc_lo, v84, v91
	v_add_co_ci_u32_e64 v132, null, v85, v89, vcc_lo
	v_mul_lo_u32 v89, s10, v101
	v_add_nc_u32_e32 v99, s10, v97
	v_add_nc_u32_e32 v103, 22, v19
	v_mul_lo_u32 v93, s10, v93
	v_add_nc_u32_e32 v104, 21, v19
	v_add_nc_u32_e32 v105, 20, v19
	v_add_nc_u32_e32 v100, s10, v99
	v_mul_lo_u32 v103, s10, v103
	v_ashrrev_i32_e32 v143, 31, v89
	v_add_co_u32 v145, vcc_lo, v31, v89
	v_add_nc_u32_e32 v102, s10, v100
	v_mul_lo_u32 v104, s10, v104
	v_ashrrev_i32_e32 v91, 31, v93
	v_add_co_ci_u32_e64 v146, null, v30, v143, vcc_lo
	v_add_co_u32 v147, vcc_lo, v84, v89
	v_add_nc_u32_e32 v106, 19, v19
	v_add_co_ci_u32_e64 v143, null, v85, v143, vcc_lo
	v_add_co_u32 v148, vcc_lo, v31, v93
	v_mul_lo_u32 v105, s10, v105
	v_ashrrev_i32_e32 v109, 31, v103
	v_add_nc_u32_e32 v107, s10, v102
	v_add_co_ci_u32_e64 v149, null, v30, v91, vcc_lo
	v_add_co_u32 v150, vcc_lo, v84, v93
	v_add_co_ci_u32_e64 v151, null, v85, v91, vcc_lo
	v_add_co_u32 v152, vcc_lo, v31, v103
	v_mul_lo_u32 v106, s10, v106
	v_ashrrev_i32_e32 v110, 31, v104
	v_add_co_ci_u32_e64 v153, null, v30, v109, vcc_lo
	v_add_co_u32 v154, vcc_lo, v84, v103
	v_add_nc_u32_e32 v108, s10, v107
	v_add_co_ci_u32_e64 v155, null, v85, v109, vcc_lo
	v_add_co_u32 v156, vcc_lo, v31, v104
	v_ashrrev_i32_e32 v111, 31, v105
	v_add_co_ci_u32_e64 v157, null, v30, v110, vcc_lo
	v_add_co_u32 v158, vcc_lo, v84, v104
	v_add_nc_u32_e32 v101, s10, v108
	v_add_co_ci_u32_e64 v159, null, v85, v110, vcc_lo
	v_add_co_u32 v160, vcc_lo, v31, v105
	v_ashrrev_i32_e32 v112, 31, v106
	v_add_co_ci_u32_e64 v161, null, v30, v111, vcc_lo
	v_add_co_u32 v162, vcc_lo, v84, v105
	v_add_co_ci_u32_e64 v163, null, v85, v111, vcc_lo
	v_add_co_u32 v164, vcc_lo, v31, v106
	v_ashrrev_i32_e32 v113, 31, v101
	v_add_co_ci_u32_e64 v165, null, v30, v112, vcc_lo
	v_add_co_u32 v166, vcc_lo, v84, v106
	v_add_co_ci_u32_e64 v167, null, v85, v112, vcc_lo
	v_add_co_u32 v168, vcc_lo, v31, v101
	v_ashrrev_i32_e32 v114, 31, v108
	v_add_co_ci_u32_e64 v169, null, v30, v113, vcc_lo
	v_add_co_u32 v170, vcc_lo, v84, v101
	v_add_co_ci_u32_e64 v171, null, v85, v113, vcc_lo
	v_add_co_u32 v172, vcc_lo, v31, v108
	v_ashrrev_i32_e32 v115, 31, v107
	v_add_co_ci_u32_e64 v173, null, v30, v114, vcc_lo
	v_add_co_u32 v174, vcc_lo, v84, v108
	v_add_co_ci_u32_e64 v175, null, v85, v114, vcc_lo
	v_add_co_u32 v176, vcc_lo, v31, v107
	v_ashrrev_i32_e32 v116, 31, v102
	v_add_co_ci_u32_e64 v177, null, v30, v115, vcc_lo
	v_add_co_u32 v178, vcc_lo, v84, v107
	v_add_co_ci_u32_e64 v179, null, v85, v115, vcc_lo
	v_add_co_u32 v180, vcc_lo, v31, v102
	v_ashrrev_i32_e32 v133, 31, v100
	v_add_co_ci_u32_e64 v181, null, v30, v116, vcc_lo
	v_add_co_u32 v182, vcc_lo, v84, v102
	v_add_co_ci_u32_e64 v183, null, v85, v116, vcc_lo
	v_add_co_u32 v184, vcc_lo, v31, v100
	v_ashrrev_i32_e32 v134, 31, v99
	v_add_co_ci_u32_e64 v185, null, v30, v133, vcc_lo
	v_add_co_u32 v186, vcc_lo, v84, v100
	v_add_co_ci_u32_e64 v187, null, v85, v133, vcc_lo
	v_add_co_u32 v188, vcc_lo, v31, v99
	v_ashrrev_i32_e32 v135, 31, v97
	v_add_co_ci_u32_e64 v189, null, v30, v134, vcc_lo
	v_add_co_u32 v190, vcc_lo, v84, v99
	v_add_co_ci_u32_e64 v191, null, v85, v134, vcc_lo
	v_add_co_u32 v192, vcc_lo, v31, v97
	v_ashrrev_i32_e32 v136, 31, v98
	v_add_co_ci_u32_e64 v193, null, v30, v135, vcc_lo
	v_add_co_u32 v194, vcc_lo, v84, v97
	v_add_co_ci_u32_e64 v195, null, v85, v135, vcc_lo
	v_add_co_u32 v196, vcc_lo, v31, v98
	v_ashrrev_i32_e32 v137, 31, v95
	v_add_co_ci_u32_e64 v197, null, v30, v136, vcc_lo
	v_add_co_u32 v198, vcc_lo, v84, v98
	v_add_co_ci_u32_e64 v199, null, v85, v136, vcc_lo
	v_add_co_u32 v200, vcc_lo, v31, v95
	v_ashrrev_i32_e32 v138, 31, v96
	v_add_co_ci_u32_e64 v201, null, v30, v137, vcc_lo
	v_add_co_u32 v202, vcc_lo, v84, v95
	v_add_co_ci_u32_e64 v203, null, v85, v137, vcc_lo
	v_add_co_u32 v204, vcc_lo, v31, v96
	v_ashrrev_i32_e32 v139, 31, v94
	v_add_co_ci_u32_e64 v205, null, v30, v138, vcc_lo
	v_add_co_u32 v206, vcc_lo, v84, v96
	v_add_co_ci_u32_e64 v207, null, v85, v138, vcc_lo
	v_add_co_u32 v208, vcc_lo, v31, v94
	v_ashrrev_i32_e32 v140, 31, v92
	v_add_co_ci_u32_e64 v209, null, v30, v139, vcc_lo
	v_add_co_u32 v210, vcc_lo, v84, v94
	v_add_co_ci_u32_e64 v211, null, v85, v139, vcc_lo
	v_add_co_u32 v212, vcc_lo, v31, v92
	v_ashrrev_i32_e32 v141, 31, v90
	v_add_co_ci_u32_e64 v213, null, v30, v140, vcc_lo
	v_add_co_u32 v214, vcc_lo, v84, v92
	v_add_co_ci_u32_e64 v215, null, v85, v140, vcc_lo
	v_add_co_u32 v216, vcc_lo, v31, v90
	v_ashrrev_i32_e32 v142, 31, v88
	v_add_co_ci_u32_e64 v217, null, v30, v141, vcc_lo
	v_add_co_u32 v218, vcc_lo, v84, v90
	v_add_co_ci_u32_e64 v219, null, v85, v141, vcc_lo
	v_add_co_u32 v220, vcc_lo, v31, v88
	v_ashrrev_i32_e32 v144, 31, v87
	v_add_co_ci_u32_e64 v221, null, v30, v142, vcc_lo
	v_add_co_u32 v222, vcc_lo, v84, v88
	v_add_co_ci_u32_e64 v223, null, v85, v142, vcc_lo
	v_add_co_u32 v224, vcc_lo, v31, v87
	v_ashrrev_i32_e32 v89, 31, v86
	v_add_co_ci_u32_e64 v225, null, v30, v144, vcc_lo
	v_add_co_u32 v226, vcc_lo, v84, v87
	v_add_co_ci_u32_e64 v227, null, v85, v144, vcc_lo
	v_add_co_u32 v228, vcc_lo, v31, v86
	v_ashrrev_i32_e32 v91, 31, v83
	v_and_b32_e32 v87, 30, v78
	v_add_co_ci_u32_e64 v229, null, v30, v89, vcc_lo
	v_add_co_u32 v230, vcc_lo, v84, v86
	v_add_co_ci_u32_e64 v231, null, v85, v89, vcc_lo
	v_add_co_u32 v232, vcc_lo, v31, v83
	v_ashrrev_i32_e32 v93, 31, v21
	v_add_co_ci_u32_e64 v233, null, v30, v91, vcc_lo
	v_add_co_u32 v234, vcc_lo, v84, v83
	v_add_nc_u32_e32 v86, 2, v87
	v_xor_b32_e32 v87, 1, v78
	v_add_co_ci_u32_e64 v235, null, v85, v91, vcc_lo
	v_add_co_u32 v31, vcc_lo, v31, v21
	v_add_co_ci_u32_e64 v30, null, v30, v93, vcc_lo
	v_add_co_u32 v236, vcc_lo, v84, v21
	v_add_co_ci_u32_e64 v237, null, v85, v93, vcc_lo
	v_cmp_lt_i32_e32 vcc_lo, v87, v86
	v_xor_b32_e32 v84, 2, v78
	v_xor_b32_e32 v85, 4, v78
	;; [unrolled: 1-line block ×3, first 2 shown]
	s_mul_i32 s50, s8, s33
	v_cndmask_b32_e32 v21, v78, v87, vcc_lo
	v_cmp_gt_i32_e32 vcc_lo, 32, v84
	v_xor_b32_e32 v87, 16, v78
	s_mov_b32 s5, s3
	v_add_co_u32 v18, s3, s50, v18
	v_lshlrev_b32_e32 v83, 2, v21
	v_mul_lo_u32 v21, v20, s12
	v_cndmask_b32_e32 v84, v78, v84, vcc_lo
	v_cmp_gt_i32_e32 vcc_lo, 32, v85
	v_add_co_ci_u32_e64 v95, null, s40, 0, s3
	s_lshl_b64 s[8:9], s[4:5], 1
	v_lshlrev_b32_e32 v20, 1, v20
	v_cndmask_b32_e32 v85, v78, v85, vcc_lo
	v_cmp_gt_i32_e32 vcc_lo, 32, v86
	v_add_nc_u32_e32 v93, s12, v21
	s_add_u32 s3, s48, s22
	s_addc_u32 s5, s45, s23
	v_lshlrev_b32_e32 v88, 1, v19
	v_cndmask_b32_e32 v86, v78, v86, vcc_lo
	v_cmp_gt_i32_e32 vcc_lo, 32, v87
	v_ashrrev_i32_e32 v94, 31, v93
	s_add_u32 s3, s18, s3
	s_addc_u32 s5, s19, s5
	v_add_co_u32 v20, s3, s3, v20
	v_cndmask_b32_e32 v87, v78, v87, vcc_lo
	v_add_co_u32 v19, vcc_lo, v18, v93
	v_add_co_ci_u32_e64 v90, null, v95, v94, vcc_lo
	v_add_co_ci_u32_e64 v92, null, s5, 0, s3
	v_add_co_u32 v89, vcc_lo, s49, v19
	v_add_co_ci_u32_e64 v90, null, s42, v90, vcc_lo
	v_add_co_u32 v91, vcc_lo, v20, 2
	v_add_co_ci_u32_e64 v92, null, 0, v92, vcc_lo
	;; [unrolled: 2-line block ×3, first 2 shown]
	v_ashrrev_i32_e32 v20, 31, v21
	v_add_co_u32 v18, vcc_lo, v18, v21
	s_add_u32 s3, s49, s50
	s_addc_u32 s5, s42, s40
	v_add_co_ci_u32_e64 v19, null, v19, v20, vcc_lo
	v_add_co_u32 v93, vcc_lo, s3, v93
	v_add_co_ci_u32_e64 v94, null, s5, v94, vcc_lo
	v_add_co_u32 v95, vcc_lo, s14, v18
	s_add_u32 s3, s16, s46
	s_addc_u32 s5, s17, s47
	v_add_co_ci_u32_e64 v96, null, s15, v19, vcc_lo
	v_add_co_u32 v97, vcc_lo, v24, 2
	s_add_u32 s18, s50, s43
	s_addc_u32 s19, s40, s44
	v_add_co_ci_u32_e64 v98, null, 0, v25, vcc_lo
	v_add_co_u32 v99, vcc_lo, s3, v22
	s_add_u32 s14, s14, s18
	v_add_co_ci_u32_e64 v100, null, s5, v23, vcc_lo
	s_addc_u32 s15, s15, s19
	v_add_co_u32 v18, vcc_lo, s14, v21
	v_add_co_ci_u32_e64 v19, null, s15, v20, vcc_lo
	v_add_co_u32 v101, vcc_lo, s3, v26
	v_add_co_ci_u32_e64 v102, null, s5, v27, vcc_lo
	v_add_co_u32 v103, vcc_lo, v18, 54
	v_add_co_ci_u32_e64 v104, null, 0, v19, vcc_lo
	v_add_co_u32 v105, vcc_lo, s16, v28
	v_add_co_ci_u32_e64 v106, null, s17, v29, vcc_lo
	v_add_co_u32 v107, vcc_lo, s16, v32
	v_add_co_ci_u32_e64 v108, null, s17, v33, vcc_lo
	v_add_co_u32 v109, vcc_lo, s16, v34
	v_add_co_ci_u32_e64 v110, null, s17, v35, vcc_lo
	v_add_co_u32 v111, vcc_lo, s16, v36
	v_add_co_ci_u32_e64 v112, null, s17, v37, vcc_lo
	v_add_co_u32 v113, vcc_lo, s16, v70
	v_add_co_ci_u32_e64 v114, null, s17, v71, vcc_lo
	v_add_co_u32 v115, vcc_lo, s16, v81
	v_add_co_ci_u32_e64 v116, null, s17, v82, vcc_lo
	v_add_co_u32 v117, vcc_lo, s16, v117
	v_add_co_ci_u32_e64 v118, null, s17, v118, vcc_lo
	v_add_co_u32 v119, vcc_lo, s16, v119
	v_add_co_ci_u32_e64 v120, null, s17, v120, vcc_lo
	v_add_co_u32 v121, vcc_lo, s16, v121
	v_add_co_ci_u32_e64 v122, null, s17, v122, vcc_lo
	v_add_co_u32 v123, vcc_lo, s16, v123
	v_add_co_ci_u32_e64 v124, null, s17, v124, vcc_lo
	v_add_co_u32 v125, vcc_lo, s16, v125
	v_add_co_ci_u32_e64 v126, null, s17, v126, vcc_lo
	v_add_co_u32 v127, vcc_lo, s16, v127
	v_add_co_ci_u32_e64 v128, null, s17, v128, vcc_lo
	v_add_co_u32 v129, vcc_lo, s16, v129
	v_add_co_ci_u32_e64 v130, null, s17, v130, vcc_lo
	v_add_co_u32 v131, vcc_lo, s16, v131
	v_add_co_ci_u32_e64 v132, null, s17, v132, vcc_lo
	v_add_co_u32 v133, vcc_lo, s16, v145
	v_add_co_ci_u32_e64 v134, null, s17, v146, vcc_lo
	v_add_co_u32 v135, vcc_lo, s16, v147
	v_add_co_ci_u32_e64 v136, null, s17, v143, vcc_lo
	v_add_co_u32 v137, vcc_lo, s16, v148
	v_add_co_ci_u32_e64 v138, null, s17, v149, vcc_lo
	v_add_co_u32 v139, vcc_lo, s16, v150
	v_add_co_ci_u32_e64 v140, null, s17, v151, vcc_lo
	v_add_co_u32 v141, vcc_lo, s16, v152
	v_add_co_ci_u32_e64 v142, null, s17, v153, vcc_lo
	v_add_co_u32 v143, vcc_lo, s16, v154
	v_add_co_ci_u32_e64 v144, null, s17, v155, vcc_lo
	v_add_co_u32 v145, vcc_lo, s16, v156
	v_add_co_ci_u32_e64 v146, null, s17, v157, vcc_lo
	v_add_co_u32 v147, vcc_lo, s16, v158
	v_add_co_ci_u32_e64 v148, null, s17, v159, vcc_lo
	v_add_co_u32 v149, vcc_lo, s16, v160
	v_add_co_ci_u32_e64 v150, null, s17, v161, vcc_lo
	v_add_co_u32 v151, vcc_lo, s16, v162
	v_add_co_ci_u32_e64 v152, null, s17, v163, vcc_lo
	v_add_co_u32 v153, vcc_lo, s16, v164
	v_add_co_ci_u32_e64 v154, null, s17, v165, vcc_lo
	v_add_co_u32 v155, vcc_lo, s16, v166
	v_add_co_ci_u32_e64 v156, null, s17, v167, vcc_lo
	v_add_co_u32 v157, vcc_lo, s16, v168
	v_add_co_ci_u32_e64 v158, null, s17, v169, vcc_lo
	v_add_co_u32 v159, vcc_lo, s16, v170
	v_add_co_ci_u32_e64 v160, null, s17, v171, vcc_lo
	v_add_co_u32 v161, vcc_lo, s16, v172
	v_add_co_ci_u32_e64 v162, null, s17, v173, vcc_lo
	v_add_co_u32 v163, vcc_lo, s16, v174
	v_add_co_ci_u32_e64 v164, null, s17, v175, vcc_lo
	v_add_co_u32 v165, vcc_lo, s16, v176
	v_add_co_ci_u32_e64 v166, null, s17, v177, vcc_lo
	v_add_co_u32 v167, vcc_lo, s16, v178
	v_add_co_ci_u32_e64 v168, null, s17, v179, vcc_lo
	v_add_co_u32 v169, vcc_lo, s16, v180
	v_add_co_ci_u32_e64 v170, null, s17, v181, vcc_lo
	v_add_co_u32 v171, vcc_lo, s16, v182
	v_add_co_ci_u32_e64 v172, null, s17, v183, vcc_lo
	v_add_co_u32 v173, vcc_lo, s16, v184
	v_add_co_ci_u32_e64 v174, null, s17, v185, vcc_lo
	v_add_co_u32 v175, vcc_lo, s16, v186
	v_add_co_ci_u32_e64 v176, null, s17, v187, vcc_lo
	v_add_co_u32 v177, vcc_lo, s16, v188
	v_add_co_ci_u32_e64 v178, null, s17, v189, vcc_lo
	v_add_co_u32 v179, vcc_lo, s16, v190
	v_add_co_ci_u32_e64 v180, null, s17, v191, vcc_lo
	v_add_co_u32 v181, vcc_lo, s16, v192
	v_add_co_ci_u32_e64 v182, null, s17, v193, vcc_lo
	v_add_co_u32 v183, vcc_lo, s16, v194
	v_add_co_ci_u32_e64 v184, null, s17, v195, vcc_lo
	v_add_co_u32 v185, vcc_lo, s16, v196
	v_add_co_ci_u32_e64 v186, null, s17, v197, vcc_lo
	v_add_co_u32 v187, vcc_lo, s16, v198
	v_add_co_ci_u32_e64 v188, null, s17, v199, vcc_lo
	v_add_co_u32 v189, vcc_lo, s16, v200
	v_add_co_ci_u32_e64 v190, null, s17, v201, vcc_lo
	v_add_co_u32 v191, vcc_lo, s16, v202
	v_add_co_ci_u32_e64 v192, null, s17, v203, vcc_lo
	v_add_co_u32 v193, vcc_lo, s16, v204
	v_add_co_ci_u32_e64 v194, null, s17, v205, vcc_lo
	v_add_co_u32 v195, vcc_lo, s16, v206
	v_add_co_ci_u32_e64 v196, null, s17, v207, vcc_lo
	v_add_co_u32 v197, vcc_lo, s16, v208
	v_add_co_ci_u32_e64 v198, null, s17, v209, vcc_lo
	v_add_co_u32 v199, vcc_lo, s16, v210
	v_add_co_ci_u32_e64 v200, null, s17, v211, vcc_lo
	v_add_co_u32 v201, vcc_lo, s16, v212
	v_add_co_ci_u32_e64 v202, null, s17, v213, vcc_lo
	v_add_co_u32 v203, vcc_lo, s16, v214
	v_add_co_ci_u32_e64 v204, null, s17, v215, vcc_lo
	v_add_co_u32 v205, vcc_lo, s16, v216
	v_add_co_ci_u32_e64 v206, null, s17, v217, vcc_lo
	v_add_co_u32 v207, vcc_lo, s16, v218
	v_add_co_ci_u32_e64 v208, null, s17, v219, vcc_lo
	v_add_co_u32 v209, vcc_lo, s16, v220
	v_add_co_ci_u32_e64 v210, null, s17, v221, vcc_lo
	v_add_co_u32 v211, vcc_lo, s16, v222
	v_add_co_ci_u32_e64 v212, null, s17, v223, vcc_lo
	v_add_co_u32 v213, vcc_lo, s16, v224
	ds_read_b128 v[18:21], v76
	v_add_co_ci_u32_e64 v214, null, s17, v225, vcc_lo
	v_add_co_u32 v215, vcc_lo, s16, v226
	v_add_co_ci_u32_e64 v216, null, s17, v227, vcc_lo
	v_add_co_u32 v217, vcc_lo, s16, v228
	;; [unrolled: 2-line block ×7, first 2 shown]
	v_lshlrev_b32_e32 v84, 2, v84
	v_lshlrev_b32_e32 v85, 2, v85
	;; [unrolled: 1-line block ×4, first 2 shown]
	v_add_co_ci_u32_e64 v228, null, s17, v237, vcc_lo
	v_mov_b32_e32 v82, 0
	v_mov_b32_e32 v23, 0xfeffffff
	v_mov_b32_e32 v229, 0x10001
	v_mov_b32_e32 v81, 0
	v_mov_b32_e32 v22, 0xfeffffff
	v_mov_b32_e32 v230, 0
	s_mul_i32 s28, s10, s2
	s_mul_i32 s29, s12, s2
	s_mul_i32 s3, s4, s12
	s_mul_i32 s5, s4, s10
	s_mov_b32 s10, 0xbbbac73d
.LBB22_17:                              ; =>This Inner Loop Header: Depth=1
	v_add_co_u32 v24, vcc_lo, v95, s29
	v_add_co_ci_u32_e64 v25, null, 0, v96, vcc_lo
	v_add_co_u32 v29, vcc_lo, v103, s29
	v_add_co_ci_u32_e64 v30, null, 0, v104, vcc_lo
	s_clause 0x5
	global_load_dword v31, v[24:25], off offset:2
	global_load_dword v32, v[24:25], off offset:10
	;; [unrolled: 1-line block ×6, first 2 shown]
	s_clause 0x1
	global_load_ushort v26, v[29:30], off offset:-54
	global_load_ushort v27, v[29:30], off offset:-36
	s_clause 0x1
	global_load_dword v236, v[24:25], off offset:56
	global_load_dword v24, v[24:25], off offset:64
	s_clause 0x1
	global_load_ushort v28, v[29:30], off offset:-18
	global_load_ushort v25, v[29:30], off
	v_mov_b32_e32 v29, 0
	v_mov_b32_e32 v30, 0
	;; [unrolled: 1-line block ×16, first 2 shown]
	s_waitcnt vmcnt(11)
	v_and_b32_e32 v235, 0xf0f0f0f, v31
	s_waitcnt vmcnt(10)
	v_and_b32_e32 v233, 0xf0f0f0f, v32
	v_lshrrev_b32_e32 v31, 4, v31
	v_lshrrev_b32_e32 v32, 4, v32
	s_waitcnt vmcnt(9)
	v_and_b32_e32 v71, 0xf0f0f0f, v33
	v_dot4c_i32_i8 v29, v235, v38
	v_dot4c_i32_i8 v30, v233, v39
	v_and_b32_e32 v234, 0xf0f0f0f, v31
	v_and_b32_e32 v232, 0xf0f0f0f, v32
	s_waitcnt vmcnt(8)
	v_and_b32_e32 v37, 0xf0f0f0f, v34
	v_cvt_f32_i32_e32 v29, v29
	v_cvt_f32_i32_e32 v30, v30
	v_dot4c_i32_i8 v70, v234, v40
	v_dot4c_i32_i8 v231, v232, v41
	v_lshrrev_b32_e32 v249, 4, v33
	v_fma_f32 v29, v2, v29, -v3
	v_fma_f32 v30, v2, v30, -v3
	v_cvt_f32_i32_e32 v32, v70
	v_dot4c_i32_i8 v237, v71, v42
	v_cvt_f32_i32_e32 v70, v231
	s_waitcnt vmcnt(5)
	v_fma_mix_f32 v29, v29, v26, 0 op_sel_hi:[0,1,0]
	v_lshrrev_b32_e32 v34, 4, v34
	v_fma_f32 v32, v2, v32, -v3
	v_and_b32_e32 v231, 0xf0f0f0f, v249
	v_dot4c_i32_i8 v238, v37, v43
	v_fma_mix_f32 v29, v30, v26, v29 op_sel_hi:[0,1,0]
	v_cvt_f32_i32_e32 v30, v237
	v_fma_f32 v237, v2, v70, -v3
	v_and_b32_e32 v70, 0xf0f0f0f, v34
	v_dot4c_i32_i8 v239, v231, v44
	v_fma_mix_f32 v29, v32, v26, v29 op_sel_hi:[0,1,0]
	v_cvt_f32_i32_e32 v32, v238
	v_fma_f32 v30, v4, v30, -v5
	v_and_b32_e32 v33, 0xf0f0f0f, v35
	v_and_b32_e32 v31, 0xf0f0f0f, v36
	v_fma_mix_f32 v29, v237, v26, v29 op_sel_hi:[0,1,0]
	v_lshrrev_b32_e32 v34, 4, v36
	v_dot4c_i32_i8 v240, v70, v45
	v_fma_f32 v32, v4, v32, -v5
	v_cvt_f32_i32_e32 v36, v239
	s_waitcnt vmcnt(4)
	v_fma_mix_f32 v30, v30, v27, v29 op_sel_hi:[0,1,0]
	v_lshrrev_b32_e32 v35, 4, v35
	v_dot4c_i32_i8 v241, v33, v46
	v_cvt_f32_i32_e32 v237, v240
	v_fma_f32 v238, v4, v36, -v5
	v_fma_mix_f32 v30, v32, v27, v30 op_sel_hi:[0,1,0]
	v_and_b32_e32 v36, 0xf0f0f0f, v35
	v_dot4c_i32_i8 v242, v31, v47
	v_cvt_f32_i32_e32 v32, v241
	v_fma_f32 v237, v4, v237, -v5
	v_fma_mix_f32 v30, v238, v27, v30 op_sel_hi:[0,1,0]
	v_and_b32_e32 v35, 0xf0f0f0f, v34
	v_cvt_f32_i32_e32 v34, v242
	v_dot4c_i32_i8 v243, v36, v48
	v_fma_f32 v238, v6, v32, -v7
	v_fma_mix_f32 v30, v237, v27, v30 op_sel_hi:[0,1,0]
	s_waitcnt vmcnt(3)
	v_and_b32_e32 v29, 0xf0f0f0f, v236
	v_dot4c_i32_i8 v244, v35, v49
	v_fma_f32 v34, v6, v34, -v7
	v_cvt_f32_i32_e32 v237, v243
	s_waitcnt vmcnt(1)
	v_fma_mix_f32 v30, v238, v28, v30 op_sel_hi:[0,1,0]
	v_and_b32_e32 v32, 0xf0f0f0f, v24
	v_lshrrev_b32_e32 v236, 4, v236
	v_dot4c_i32_i8 v245, v29, v50
	v_cvt_f32_i32_e32 v238, v244
	v_fma_f32 v237, v6, v237, -v7
	v_fma_mix_f32 v30, v34, v28, v30 op_sel_hi:[0,1,0]
	v_lshrrev_b32_e32 v24, 4, v24
	v_dot4c_i32_i8 v246, v32, v51
	v_cvt_f32_i32_e32 v239, v245
	v_fma_f32 v238, v6, v238, -v7
	v_fma_mix_f32 v237, v237, v28, v30 op_sel_hi:[0,1,0]
	v_and_b32_e32 v34, 0xf0f0f0f, v236
	v_and_b32_e32 v30, 0xf0f0f0f, v24
	v_cvt_f32_i32_e32 v24, v246
	v_fma_f32 v236, v8, v239, -v9
	v_fma_mix_f32 v237, v238, v28, v237 op_sel_hi:[0,1,0]
	v_dot4c_i32_i8 v247, v34, v52
	v_dot4c_i32_i8 v248, v30, v53
	v_fma_f32 v24, v8, v24, -v9
	s_waitcnt vmcnt(0)
	v_fma_mix_f32 v236, v236, v25, v237 op_sel_hi:[0,1,0]
	v_cvt_f32_i32_e32 v237, v247
	v_cvt_f32_i32_e32 v238, v248
	v_fma_mix_f32 v24, v24, v25, v236 op_sel_hi:[0,1,0]
	v_fma_f32 v236, v8, v237, -v9
	v_fma_f32 v237, v8, v238, -v9
	v_fma_mix_f32 v24, v236, v25, v24 op_sel_hi:[0,1,0]
	v_fma_mix_f32 v24, v237, v25, v24 op_sel_hi:[0,1,0]
	ds_bpermute_b32 v236, v83, v24
	s_waitcnt lgkmcnt(0)
	v_add_f32_e32 v24, v24, v236
                                        ; implicit-def: $vgpr236
	v_cmp_ngt_f32_e64 s12, 0x3f200000, |v24|
	s_and_saveexec_b32 s14, s12
	s_xor_b32 s12, exec_lo, s14
	s_cbranch_execz .LBB22_19
; %bb.18:                               ;   in Loop: Header=BB22_17 Depth=1
	v_add_f32_e64 v236, |v24|, |v24|
	v_mul_f32_e32 v237, 0x3fb8aa3b, v236
	v_cmp_ngt_f32_e32 vcc_lo, 0xc2ce8ed0, v236
	v_rndne_f32_e32 v238, v237
	v_fma_f32 v239, 0x3fb8aa3b, v236, -v237
	v_sub_f32_e32 v237, v237, v238
	v_fmac_f32_e32 v239, 0x32a5705f, v236
	v_cvt_i32_f32_e32 v238, v238
	v_add_f32_e32 v237, v237, v239
	v_exp_f32_e32 v237, v237
	v_ldexp_f32 v237, v237, v238
	v_cndmask_b32_e32 v237, 0, v237, vcc_lo
	v_cmp_nlt_f32_e32 vcc_lo, 0x42b17218, v236
	v_cndmask_b32_e32 v236, 0x7f800000, v237, vcc_lo
	v_add_f32_e32 v236, 1.0, v236
	v_rcp_f32_e32 v236, v236
	v_fma_f32 v236, v236, -2.0, 1.0
.LBB22_19:                              ;   in Loop: Header=BB22_17 Depth=1
	s_andn2_saveexec_b32 s12, s12
	s_cbranch_execz .LBB22_21
; %bb.20:                               ;   in Loop: Header=BB22_17 Depth=1
	v_mul_f32_e32 v236, v24, v24
	v_fmaak_f32 v237, s10, v236, 0x3ca908c9
	v_fmaak_f32 v237, v236, v237, 0xbd5c1c4e
	;; [unrolled: 1-line block ×4, first 2 shown]
	v_mul_f32_e64 v237, |v24|, v237
	v_fma_f32 v236, v236, v237, |v24|
.LBB22_21:                              ;   in Loop: Header=BB22_17 Depth=1
	s_or_b32 exec_lo, exec_lo, s12
	v_bfi_b32 v24, 0x7fffffff, v236, v24
	s_andn2_b32 vcc_lo, exec_lo, s35
	v_mul_f32_e32 v24, s41, v24
	s_cbranch_vccnz .LBB22_23
; %bb.22:                               ;   in Loop: Header=BB22_17 Depth=1
	v_add_co_u32 v236, vcc_lo, v91, s11
	v_add_co_ci_u32_e64 v237, null, s13, v92, vcc_lo
	global_load_ushort v236, v[236:237], off offset:-2
	s_waitcnt vmcnt(0)
	v_fma_mix_f32 v24, v77, v236, v24 op_sel_hi:[0,1,0]
.LBB22_23:                              ;   in Loop: Header=BB22_17 Depth=1
	v_mov_b32_e32 v236, 0
	v_mov_b32_e32 v237, 0
	v_cvt_f32_f16_e32 v26, v26
	v_cvt_f32_f16_e32 v27, v27
	;; [unrolled: 1-line block ×3, first 2 shown]
	v_dot4c_i32_i8 v236, v235, v54
	v_mov_b32_e32 v235, 0
	v_dot4c_i32_i8 v237, v233, v55
	v_cvt_f32_f16_e32 v25, v25
	v_cvt_f32_i32_e32 v233, v236
	v_mov_b32_e32 v236, 0
	v_dot4c_i32_i8 v235, v234, v56
	v_cvt_f32_i32_e32 v234, v237
	v_mov_b32_e32 v237, 0
	v_fma_f32 v233, v10, v233, -v11
	v_dot4c_i32_i8 v236, v232, v57
	v_cvt_f32_i32_e32 v232, v235
	v_fma_f32 v234, v10, v234, -v11
	v_mov_b32_e32 v235, 0
	v_fma_f32 v233, v233, v26, 0
	v_dot4c_i32_i8 v237, v71, v58
	v_cvt_f32_i32_e32 v71, v236
	v_fma_f32 v232, v10, v232, -v11
	v_dot4c_i32_i8 v235, v37, v59
	v_fmac_f32_e32 v233, v234, v26
	v_mov_b32_e32 v234, 0
	v_cvt_f32_i32_e32 v37, v237
	v_fma_f32 v71, v10, v71, -v11
	v_fmac_f32_e32 v233, v232, v26
	v_mov_b32_e32 v232, 0
	v_dot4c_i32_i8 v234, v231, v60
	v_cvt_f32_i32_e32 v231, v235
	v_fma_f32 v37, v12, v37, -v13
	v_fmac_f32_e32 v233, v71, v26
	v_mov_b32_e32 v26, 0
	v_dot4c_i32_i8 v232, v70, v61
	;; [unrolled: 5-line block ×8, first 2 shown]
	v_cvt_f32_i32_e32 v27, v27
	v_fma_f32 v29, v14, v29, -v15
	v_fmac_f32_e32 v233, v31, v28
	v_dot4c_i32_i8 v33, v34, v68
	v_cvt_f32_i32_e32 v26, v26
	v_fma_f32 v27, v16, v27, -v17
	v_fmac_f32_e32 v233, v29, v28
	v_mov_b32_e32 v28, 0
	v_cvt_f32_i32_e32 v29, v33
	v_fma_f32 v26, v16, v26, -v17
	v_fmac_f32_e32 v233, v27, v25
	v_dot4c_i32_i8 v28, v30, v69
	v_fma_f32 v27, v16, v29, -v17
	v_fmac_f32_e32 v233, v26, v25
	v_cvt_f32_i32_e32 v26, v28
	v_fmac_f32_e32 v233, v27, v25
	v_fma_f32 v26, v16, v26, -v17
	v_fmac_f32_e32 v233, v26, v25
                                        ; implicit-def: $vgpr26
	ds_bpermute_b32 v25, v83, v233
	s_waitcnt lgkmcnt(0)
	v_add_f32_e32 v25, v233, v25
	v_cmp_ngt_f32_e64 s12, 0x3f200000, |v25|
	s_and_saveexec_b32 s14, s12
	s_xor_b32 s12, exec_lo, s14
	s_cbranch_execz .LBB22_25
; %bb.24:                               ;   in Loop: Header=BB22_17 Depth=1
	v_add_f32_e64 v26, |v25|, |v25|
	v_mul_f32_e32 v27, 0x3fb8aa3b, v26
	v_cmp_ngt_f32_e32 vcc_lo, 0xc2ce8ed0, v26
	v_rndne_f32_e32 v28, v27
	v_fma_f32 v29, 0x3fb8aa3b, v26, -v27
	v_sub_f32_e32 v27, v27, v28
	v_fmac_f32_e32 v29, 0x32a5705f, v26
	v_cvt_i32_f32_e32 v28, v28
	v_add_f32_e32 v27, v27, v29
	v_exp_f32_e32 v27, v27
	v_ldexp_f32 v27, v27, v28
	v_cndmask_b32_e32 v27, 0, v27, vcc_lo
	v_cmp_nlt_f32_e32 vcc_lo, 0x42b17218, v26
	v_cndmask_b32_e32 v26, 0x7f800000, v27, vcc_lo
	v_add_f32_e32 v26, 1.0, v26
	v_rcp_f32_e32 v26, v26
	v_fma_f32 v26, v26, -2.0, 1.0
.LBB22_25:                              ;   in Loop: Header=BB22_17 Depth=1
	s_andn2_saveexec_b32 s12, s12
	s_cbranch_execz .LBB22_27
; %bb.26:                               ;   in Loop: Header=BB22_17 Depth=1
	v_mul_f32_e32 v26, v25, v25
	v_fmaak_f32 v27, s10, v26, 0x3ca908c9
	v_fmaak_f32 v27, v26, v27, 0xbd5c1c4e
	;; [unrolled: 1-line block ×4, first 2 shown]
	v_mul_f32_e64 v27, |v25|, v27
	v_fma_f32 v26, v26, v27, |v25|
.LBB22_27:                              ;   in Loop: Header=BB22_17 Depth=1
	s_or_b32 exec_lo, exec_lo, s12
	v_bfi_b32 v25, 0x7fffffff, v26, v25
	s_andn2_b32 vcc_lo, exec_lo, s39
	v_mul_f32_e32 v25, s41, v25
	s_cbranch_vccnz .LBB22_29
; %bb.28:                               ;   in Loop: Header=BB22_17 Depth=1
	v_add_co_u32 v26, vcc_lo, v79, s11
	v_add_co_ci_u32_e64 v27, null, s13, v80, vcc_lo
	global_load_ushort v26, v[26:27], off
	s_waitcnt vmcnt(0)
	v_fma_mix_f32 v25, v77, v26, v25 op_sel_hi:[0,1,0]
.LBB22_29:                              ;   in Loop: Header=BB22_17 Depth=1
	v_add_co_u32 v29, vcc_lo, v89, s29
	v_add_co_ci_u32_e64 v30, null, 0, v90, vcc_lo
	v_add_co_u32 v31, vcc_lo, v93, s29
	v_add_co_ci_u32_e64 v32, null, 0, v94, vcc_lo
	s_clause 0x5
	global_load_dword v33, v[29:30], off offset:2
	global_load_dword v34, v[29:30], off offset:10
	;; [unrolled: 1-line block ×6, first 2 shown]
	s_clause 0x1
	global_load_ushort v27, v[31:32], off
	global_load_ushort v28, v[31:32], off offset:18
	s_clause 0x1
	global_load_dword v238, v[29:30], off offset:56
	global_load_dword v30, v[29:30], off offset:64
	s_clause 0x1
	global_load_ushort v29, v[31:32], off offset:36
	global_load_ushort v26, v[31:32], off offset:54
	v_mov_b32_e32 v31, 0
	v_mov_b32_e32 v32, 0
	;; [unrolled: 1-line block ×16, first 2 shown]
	s_waitcnt vmcnt(11)
	v_and_b32_e32 v237, 0xf0f0f0f, v33
	s_waitcnt vmcnt(10)
	v_and_b32_e32 v235, 0xf0f0f0f, v34
	v_lshrrev_b32_e32 v33, 4, v33
	v_lshrrev_b32_e32 v34, 4, v34
	s_waitcnt vmcnt(9)
	v_and_b32_e32 v232, 0xf0f0f0f, v35
	v_dot4c_i32_i8 v31, v237, v38
	v_dot4c_i32_i8 v32, v235, v39
	v_and_b32_e32 v236, 0xf0f0f0f, v33
	v_and_b32_e32 v234, 0xf0f0f0f, v34
	s_waitcnt vmcnt(8)
	v_and_b32_e32 v71, 0xf0f0f0f, v36
	v_cvt_f32_i32_e32 v31, v31
	v_cvt_f32_i32_e32 v32, v32
	v_dot4c_i32_i8 v231, v236, v40
	v_dot4c_i32_i8 v233, v234, v41
	v_lshrrev_b32_e32 v251, 4, v35
	v_fma_f32 v31, v2, v31, -v3
	v_fma_f32 v32, v2, v32, -v3
	v_cvt_f32_i32_e32 v34, v231
	v_dot4c_i32_i8 v239, v232, v42
	v_cvt_f32_i32_e32 v231, v233
	s_waitcnt vmcnt(5)
	v_fma_mix_f32 v31, v31, v27, 0 op_sel_hi:[0,1,0]
	v_lshrrev_b32_e32 v36, 4, v36
	v_fma_f32 v34, v2, v34, -v3
	v_and_b32_e32 v233, 0xf0f0f0f, v251
	v_dot4c_i32_i8 v240, v71, v43
	v_fma_mix_f32 v31, v32, v27, v31 op_sel_hi:[0,1,0]
	v_cvt_f32_i32_e32 v32, v239
	v_fma_f32 v239, v2, v231, -v3
	v_and_b32_e32 v231, 0xf0f0f0f, v36
	v_dot4c_i32_i8 v241, v233, v44
	v_fma_mix_f32 v31, v34, v27, v31 op_sel_hi:[0,1,0]
	v_cvt_f32_i32_e32 v34, v240
	v_fma_f32 v32, v4, v32, -v5
	v_and_b32_e32 v35, 0xf0f0f0f, v37
	v_and_b32_e32 v33, 0xf0f0f0f, v70
	v_fma_mix_f32 v31, v239, v27, v31 op_sel_hi:[0,1,0]
	v_lshrrev_b32_e32 v36, 4, v70
	v_dot4c_i32_i8 v242, v231, v45
	v_fma_f32 v34, v4, v34, -v5
	v_cvt_f32_i32_e32 v70, v241
	s_waitcnt vmcnt(4)
	v_fma_mix_f32 v32, v32, v28, v31 op_sel_hi:[0,1,0]
	v_lshrrev_b32_e32 v37, 4, v37
	v_dot4c_i32_i8 v243, v35, v46
	v_cvt_f32_i32_e32 v239, v242
	v_fma_f32 v240, v4, v70, -v5
	v_fma_mix_f32 v32, v34, v28, v32 op_sel_hi:[0,1,0]
	v_and_b32_e32 v70, 0xf0f0f0f, v37
	v_dot4c_i32_i8 v244, v33, v47
	v_cvt_f32_i32_e32 v34, v243
	v_fma_f32 v239, v4, v239, -v5
	v_fma_mix_f32 v32, v240, v28, v32 op_sel_hi:[0,1,0]
	v_and_b32_e32 v37, 0xf0f0f0f, v36
	v_cvt_f32_i32_e32 v36, v244
	v_dot4c_i32_i8 v245, v70, v48
	v_fma_f32 v240, v6, v34, -v7
	v_fma_mix_f32 v32, v239, v28, v32 op_sel_hi:[0,1,0]
	s_waitcnt vmcnt(3)
	v_and_b32_e32 v31, 0xf0f0f0f, v238
	v_dot4c_i32_i8 v246, v37, v49
	v_fma_f32 v36, v6, v36, -v7
	v_cvt_f32_i32_e32 v239, v245
	s_waitcnt vmcnt(1)
	v_fma_mix_f32 v32, v240, v29, v32 op_sel_hi:[0,1,0]
	v_and_b32_e32 v34, 0xf0f0f0f, v30
	v_lshrrev_b32_e32 v238, 4, v238
	v_dot4c_i32_i8 v247, v31, v50
	v_cvt_f32_i32_e32 v240, v246
	v_fma_f32 v239, v6, v239, -v7
	v_fma_mix_f32 v32, v36, v29, v32 op_sel_hi:[0,1,0]
	v_lshrrev_b32_e32 v30, 4, v30
	v_dot4c_i32_i8 v248, v34, v51
	v_cvt_f32_i32_e32 v241, v247
	v_fma_f32 v240, v6, v240, -v7
	v_fma_mix_f32 v239, v239, v29, v32 op_sel_hi:[0,1,0]
	v_and_b32_e32 v36, 0xf0f0f0f, v238
	v_and_b32_e32 v32, 0xf0f0f0f, v30
	v_cvt_f32_i32_e32 v30, v248
	v_fma_f32 v238, v8, v241, -v9
	v_fma_mix_f32 v239, v240, v29, v239 op_sel_hi:[0,1,0]
	v_dot4c_i32_i8 v249, v36, v52
	v_dot4c_i32_i8 v250, v32, v53
	v_fma_f32 v30, v8, v30, -v9
	s_waitcnt vmcnt(0)
	v_fma_mix_f32 v238, v238, v26, v239 op_sel_hi:[0,1,0]
	v_cvt_f32_i32_e32 v239, v249
	v_cvt_f32_i32_e32 v240, v250
	v_fma_mix_f32 v30, v30, v26, v238 op_sel_hi:[0,1,0]
	v_fma_f32 v238, v8, v239, -v9
	v_fma_f32 v239, v8, v240, -v9
	v_fma_mix_f32 v30, v238, v26, v30 op_sel_hi:[0,1,0]
	v_fma_mix_f32 v30, v239, v26, v30 op_sel_hi:[0,1,0]
	ds_bpermute_b32 v238, v83, v30
	s_waitcnt lgkmcnt(0)
	v_add_f32_e32 v30, v30, v238
                                        ; implicit-def: $vgpr238
	v_cmp_ngt_f32_e64 s12, 0x3f200000, |v30|
	s_and_saveexec_b32 s14, s12
	s_xor_b32 s12, exec_lo, s14
	s_cbranch_execz .LBB22_31
; %bb.30:                               ;   in Loop: Header=BB22_17 Depth=1
	v_add_f32_e64 v238, |v30|, |v30|
	v_mul_f32_e32 v239, 0x3fb8aa3b, v238
	v_cmp_ngt_f32_e32 vcc_lo, 0xc2ce8ed0, v238
	v_rndne_f32_e32 v240, v239
	v_fma_f32 v241, 0x3fb8aa3b, v238, -v239
	v_sub_f32_e32 v239, v239, v240
	v_fmac_f32_e32 v241, 0x32a5705f, v238
	v_cvt_i32_f32_e32 v240, v240
	v_add_f32_e32 v239, v239, v241
	v_exp_f32_e32 v239, v239
	v_ldexp_f32 v239, v239, v240
	v_cndmask_b32_e32 v239, 0, v239, vcc_lo
	v_cmp_nlt_f32_e32 vcc_lo, 0x42b17218, v238
	v_cndmask_b32_e32 v238, 0x7f800000, v239, vcc_lo
	v_add_f32_e32 v238, 1.0, v238
	v_rcp_f32_e32 v238, v238
	v_fma_f32 v238, v238, -2.0, 1.0
.LBB22_31:                              ;   in Loop: Header=BB22_17 Depth=1
	s_andn2_saveexec_b32 s12, s12
	s_cbranch_execz .LBB22_33
; %bb.32:                               ;   in Loop: Header=BB22_17 Depth=1
	v_mul_f32_e32 v238, v30, v30
	v_fmaak_f32 v239, s10, v238, 0x3ca908c9
	v_fmaak_f32 v239, v238, v239, 0xbd5c1c4e
	;; [unrolled: 1-line block ×4, first 2 shown]
	v_mul_f32_e64 v239, |v30|, v239
	v_fma_f32 v238, v238, v239, |v30|
.LBB22_33:                              ;   in Loop: Header=BB22_17 Depth=1
	s_or_b32 exec_lo, exec_lo, s12
	v_bfi_b32 v30, 0x7fffffff, v238, v30
	s_andn2_b32 vcc_lo, exec_lo, s35
	v_mul_f32_e32 v30, s41, v30
	s_cbranch_vccnz .LBB22_35
; %bb.34:                               ;   in Loop: Header=BB22_17 Depth=1
	v_add_co_u32 v238, vcc_lo, v91, s11
	v_add_co_ci_u32_e64 v239, null, s13, v92, vcc_lo
	global_load_ushort v238, v[238:239], off
	s_waitcnt vmcnt(0)
	v_fma_mix_f32 v30, v77, v238, v30 op_sel_hi:[0,1,0]
.LBB22_35:                              ;   in Loop: Header=BB22_17 Depth=1
	v_mov_b32_e32 v238, 0
	v_mov_b32_e32 v239, 0
	v_cvt_f32_f16_e32 v27, v27
	v_cvt_f32_f16_e32 v28, v28
	;; [unrolled: 1-line block ×3, first 2 shown]
	v_dot4c_i32_i8 v238, v237, v54
	v_mov_b32_e32 v237, 0
	v_dot4c_i32_i8 v239, v235, v55
	v_cvt_f32_f16_e32 v26, v26
	v_cvt_f32_i32_e32 v235, v238
	v_mov_b32_e32 v238, 0
	v_dot4c_i32_i8 v237, v236, v56
	v_cvt_f32_i32_e32 v236, v239
	v_mov_b32_e32 v239, 0
	v_fma_f32 v235, v10, v235, -v11
	v_dot4c_i32_i8 v238, v234, v57
	v_cvt_f32_i32_e32 v234, v237
	v_fma_f32 v236, v10, v236, -v11
	v_mov_b32_e32 v237, 0
	v_fma_f32 v235, v235, v27, 0
	v_dot4c_i32_i8 v239, v232, v58
	v_cvt_f32_i32_e32 v232, v238
	v_fma_f32 v234, v10, v234, -v11
	v_dot4c_i32_i8 v237, v71, v59
	v_fmac_f32_e32 v235, v236, v27
	v_mov_b32_e32 v236, 0
	v_cvt_f32_i32_e32 v71, v239
	v_fma_f32 v232, v10, v232, -v11
	v_fmac_f32_e32 v235, v234, v27
	v_mov_b32_e32 v234, 0
	v_dot4c_i32_i8 v236, v233, v60
	v_cvt_f32_i32_e32 v233, v237
	v_fma_f32 v71, v12, v71, -v13
	v_fmac_f32_e32 v235, v232, v27
	v_mov_b32_e32 v27, 0
	v_dot4c_i32_i8 v234, v231, v61
	;; [unrolled: 5-line block ×8, first 2 shown]
	v_cvt_f32_i32_e32 v28, v28
	v_fma_f32 v31, v14, v31, -v15
	v_fmac_f32_e32 v235, v33, v29
	v_dot4c_i32_i8 v35, v36, v68
	v_cvt_f32_i32_e32 v27, v27
	v_fma_f32 v28, v16, v28, -v17
	v_fmac_f32_e32 v235, v31, v29
	v_mov_b32_e32 v29, 0
	v_cvt_f32_i32_e32 v31, v35
	v_fma_f32 v27, v16, v27, -v17
	v_fmac_f32_e32 v235, v28, v26
	v_dot4c_i32_i8 v29, v32, v69
	v_fma_f32 v28, v16, v31, -v17
	v_fmac_f32_e32 v235, v27, v26
	v_cvt_f32_i32_e32 v27, v29
	v_fmac_f32_e32 v235, v28, v26
	v_fma_f32 v27, v16, v27, -v17
	v_fmac_f32_e32 v235, v27, v26
                                        ; implicit-def: $vgpr27
	ds_bpermute_b32 v26, v83, v235
	s_waitcnt lgkmcnt(0)
	v_add_f32_e32 v26, v235, v26
	v_cmp_ngt_f32_e64 s12, 0x3f200000, |v26|
	s_and_saveexec_b32 s14, s12
	s_xor_b32 s12, exec_lo, s14
	s_cbranch_execz .LBB22_37
; %bb.36:                               ;   in Loop: Header=BB22_17 Depth=1
	v_add_f32_e64 v27, |v26|, |v26|
	v_mul_f32_e32 v28, 0x3fb8aa3b, v27
	v_cmp_ngt_f32_e32 vcc_lo, 0xc2ce8ed0, v27
	v_rndne_f32_e32 v29, v28
	v_fma_f32 v31, 0x3fb8aa3b, v27, -v28
	v_sub_f32_e32 v28, v28, v29
	v_fmac_f32_e32 v31, 0x32a5705f, v27
	v_cvt_i32_f32_e32 v29, v29
	v_add_f32_e32 v28, v28, v31
	v_exp_f32_e32 v28, v28
	v_ldexp_f32 v28, v28, v29
	v_cndmask_b32_e32 v28, 0, v28, vcc_lo
	v_cmp_nlt_f32_e32 vcc_lo, 0x42b17218, v27
	v_cndmask_b32_e32 v27, 0x7f800000, v28, vcc_lo
	v_add_f32_e32 v27, 1.0, v27
	v_rcp_f32_e32 v27, v27
	v_fma_f32 v27, v27, -2.0, 1.0
.LBB22_37:                              ;   in Loop: Header=BB22_17 Depth=1
	s_andn2_saveexec_b32 s12, s12
	s_cbranch_execz .LBB22_39
; %bb.38:                               ;   in Loop: Header=BB22_17 Depth=1
	v_mul_f32_e32 v27, v26, v26
	v_fmaak_f32 v28, s10, v27, 0x3ca908c9
	v_fmaak_f32 v28, v27, v28, 0xbd5c1c4e
	;; [unrolled: 1-line block ×4, first 2 shown]
	v_mul_f32_e64 v28, |v26|, v28
	v_fma_f32 v27, v27, v28, |v26|
.LBB22_39:                              ;   in Loop: Header=BB22_17 Depth=1
	s_or_b32 exec_lo, exec_lo, s12
	v_bfi_b32 v26, 0x7fffffff, v27, v26
	s_andn2_b32 vcc_lo, exec_lo, s39
	v_mul_f32_e32 v26, s41, v26
	s_cbranch_vccnz .LBB22_41
; %bb.40:                               ;   in Loop: Header=BB22_17 Depth=1
	v_add_co_u32 v27, vcc_lo, v97, s11
	v_add_co_ci_u32_e64 v28, null, s13, v98, vcc_lo
	global_load_ushort v27, v[27:28], off
	s_waitcnt vmcnt(0)
	v_fma_mix_f32 v26, v77, v27, v26 op_sel_hi:[0,1,0]
.LBB22_41:                              ;   in Loop: Header=BB22_17 Depth=1
	v_cndmask_b32_e64 v27, v230, v24, s1
	v_add_f32_e32 v24, 0x40051340, v24
	v_add_f32_e32 v28, 0x40051340, v30
	;; [unrolled: 1-line block ×3, first 2 shown]
	s_add_i32 s2, s2, s4
	s_cmp_ge_i32 s2, s31
	v_max3_f32 v24, v23, v24, v28
	v_add_f32_e32 v28, 0x40051340, v25
	v_cndmask_b32_e64 v25, v26, v25, s1
	v_cndmask_b32_e64 v26, v30, v27, s1
	ds_bpermute_b32 v27, v84, v24
	v_max3_f32 v28, v22, v28, v29
	s_waitcnt lgkmcnt(0)
	v_max_f32_e32 v27, v27, v27
	v_max_f32_e32 v24, v24, v27
	ds_bpermute_b32 v27, v85, v24
	s_waitcnt lgkmcnt(0)
	v_max_f32_e32 v27, v27, v27
	v_max_f32_e32 v24, v24, v27
	ds_bpermute_b32 v27, v86, v24
	;; [unrolled: 4-line block ×3, first 2 shown]
	s_waitcnt lgkmcnt(0)
	v_max_f32_e32 v27, v27, v27
	v_max_f32_e32 v70, v24, v27
	v_sub_f32_e32 v23, v23, v70
	v_mul_f32_e32 v24, 0x3fb8aa3b, v23
	v_cmp_ngt_f32_e32 vcc_lo, 0xc2ce8ed0, v23
	v_fma_f32 v27, 0x3fb8aa3b, v23, -v24
	v_rndne_f32_e32 v29, v24
	v_fmac_f32_e32 v27, 0x32a5705f, v23
	v_sub_f32_e32 v24, v24, v29
	v_add_f32_e32 v24, v24, v27
	v_cvt_i32_f32_e32 v27, v29
	v_exp_f32_e32 v24, v24
	v_ldexp_f32 v24, v24, v27
	v_cndmask_b32_e32 v24, 0, v24, vcc_lo
	v_cmp_nlt_f32_e32 vcc_lo, 0x42b17218, v23
	v_cndmask_b32_e32 v23, 0x7f800000, v24, vcc_lo
	v_sub_f32_e32 v24, v26, v70
	v_mul_f32_e32 v26, 0x3fb8aa3b, v24
	v_cmp_ngt_f32_e32 vcc_lo, 0xc2ce8ed0, v24
	v_fma_f32 v27, 0x3fb8aa3b, v24, -v26
	v_rndne_f32_e32 v29, v26
	v_fmac_f32_e32 v27, 0x32a5705f, v24
	v_sub_f32_e32 v26, v26, v29
	v_add_f32_e32 v26, v26, v27
	v_cvt_i32_f32_e32 v27, v29
	v_exp_f32_e32 v26, v26
	v_ldexp_f32 v26, v26, v27
	v_cndmask_b32_e32 v26, 0, v26, vcc_lo
	v_cmp_nlt_f32_e32 vcc_lo, 0x42b17218, v24
	v_cndmask_b32_e32 v230, 0x7f800000, v26, vcc_lo
	v_fma_f32 v82, v82, v23, v230
	v_cvt_f16_f32_e32 v23, v23
	v_cvt_f16_f32_e32 v24, v230
	v_mul_u32_u24_sdwa v23, v23, v229 dst_sel:DWORD dst_unused:UNUSED_PAD src0_sel:WORD_0 src1_sel:DWORD
	ds_write_b16 v75, v24
	v_pk_mul_f16 v235, v18, v23
	ds_bpermute_b32 v18, v84, v28
	v_pk_mul_f16 v236, v19, v23
	s_waitcnt lgkmcnt(0)
	v_max_f32_e32 v18, v18, v18
	v_max_f32_e32 v18, v28, v18
	ds_bpermute_b32 v19, v85, v18
	s_waitcnt lgkmcnt(0)
	v_max_f32_e32 v19, v19, v19
	v_max_f32_e32 v18, v18, v19
	ds_bpermute_b32 v19, v86, v18
	;; [unrolled: 4-line block ×3, first 2 shown]
	s_waitcnt lgkmcnt(0)
	v_max_f32_e32 v19, v19, v19
	v_max_f32_e32 v71, v18, v19
	v_sub_f32_e32 v18, v22, v71
	v_mul_f32_e32 v19, 0x3fb8aa3b, v18
	v_cmp_ngt_f32_e32 vcc_lo, 0xc2ce8ed0, v18
	v_fma_f32 v22, 0x3fb8aa3b, v18, -v19
	v_rndne_f32_e32 v23, v19
	v_fmac_f32_e32 v22, 0x32a5705f, v18
	v_sub_f32_e32 v19, v19, v23
	v_add_f32_e32 v19, v19, v22
	v_cvt_i32_f32_e32 v22, v23
	v_exp_f32_e32 v19, v19
	v_ldexp_f32 v19, v19, v22
	v_cndmask_b32_e32 v19, 0, v19, vcc_lo
	v_cmp_nlt_f32_e32 vcc_lo, 0x42b17218, v18
	v_cndmask_b32_e32 v18, 0x7f800000, v19, vcc_lo
	v_sub_f32_e32 v19, v25, v71
	v_mul_f32_e32 v22, 0x3fb8aa3b, v19
	v_cmp_ngt_f32_e32 vcc_lo, 0xc2ce8ed0, v19
	v_fma_f32 v23, 0x3fb8aa3b, v19, -v22
	v_rndne_f32_e32 v24, v22
	v_fmac_f32_e32 v23, 0x32a5705f, v19
	v_sub_f32_e32 v22, v22, v24
	v_add_f32_e32 v22, v22, v23
	v_cvt_i32_f32_e32 v23, v24
	v_exp_f32_e32 v22, v22
	v_ldexp_f32 v22, v22, v23
	v_cndmask_b32_e32 v22, 0, v22, vcc_lo
	v_cmp_nlt_f32_e32 vcc_lo, 0x42b17218, v19
	v_cndmask_b32_e32 v19, 0x7f800000, v22, vcc_lo
	v_add_co_u32 v231, vcc_lo, v99, s28
	v_add_co_ci_u32_e64 v232, null, 0, v100, vcc_lo
	v_fma_f32 v81, v81, v18, v19
	v_cvt_f16_f32_e32 v18, v18
	v_add_co_u32 v233, vcc_lo, v101, s28
	v_cvt_f16_f32_e32 v19, v19
	v_add_co_ci_u32_e64 v234, null, 0, v102, vcc_lo
	v_mul_u32_u24_sdwa v18, v18, v229 dst_sel:DWORD dst_unused:UNUSED_PAD src0_sel:WORD_0 src1_sel:DWORD
	ds_write_b16 v75, v19 offset:256
	v_pk_mul_f16 v237, v20, v18
	v_pk_mul_f16 v238, v21, v18
	ds_read_b128 v[30:33], v88
	ds_read_b128 v[26:29], v88 offset:16
	ds_read_b128 v[22:25], v88 offset:32
	;; [unrolled: 1-line block ×3, first 2 shown]
	global_load_ushort v231, v[231:232], off
	global_load_dword v232, v[233:234], off offset:2
	ds_read_b128 v[34:37], v88 offset:256
	s_waitcnt lgkmcnt(4)
	v_mul_u32_u24_sdwa v239, v30, v229 dst_sel:DWORD dst_unused:UNUSED_PAD src0_sel:WORD_0 src1_sel:DWORD
	v_mul_u32_u24_sdwa v30, v30, v229 dst_sel:DWORD dst_unused:UNUSED_PAD src0_sel:WORD_1 src1_sel:DWORD
	s_waitcnt lgkmcnt(0)
	v_mul_u32_u24_sdwa v240, v34, v229 dst_sel:DWORD dst_unused:UNUSED_PAD src0_sel:WORD_0 src1_sel:DWORD
	v_mul_u32_u24_sdwa v34, v34, v229 dst_sel:DWORD dst_unused:UNUSED_PAD src0_sel:WORD_1 src1_sel:DWORD
	s_waitcnt vmcnt(1)
	v_mul_u32_u24_e32 v231, 0x10001, v231
	s_waitcnt vmcnt(0)
	v_pk_lshrrev_b16 v233, 8, v232 op_sel:[1,0] op_sel_hi:[0,0]
	v_pk_lshrrev_b16 v232, 8, v232 op_sel:[1,1] op_sel_hi:[0,1]
	v_lshrrev_b32_e32 v234, 16, v233
	v_cvt_f16_i16_sdwa v233, sext(v233) dst_sel:DWORD dst_unused:UNUSED_PAD src0_sel:BYTE_0
	v_cvt_f16_i16_sdwa v234, sext(v234) dst_sel:DWORD dst_unused:UNUSED_PAD src0_sel:BYTE_0
	v_pack_b32_f16 v233, v233, v234
	v_lshrrev_b32_e32 v234, 16, v232
	v_cvt_f16_i16_sdwa v232, sext(v232) dst_sel:DWORD dst_unused:UNUSED_PAD src0_sel:BYTE_0
	v_pk_mul_f16 v233, v233, v231
	v_cvt_f16_i16_sdwa v234, sext(v234) dst_sel:DWORD dst_unused:UNUSED_PAD src0_sel:BYTE_0
	v_pk_fma_f16 v235, v233, v239, v235
	v_pack_b32_f16 v232, v232, v234
	v_pk_fma_f16 v237, v233, v240, v237
	v_pk_mul_f16 v231, v232, v231
	v_pk_fma_f16 v236, v231, v239, v236
	v_pk_fma_f16 v238, v231, v240, v238
	v_add_co_u32 v231, vcc_lo, v227, s28
	v_add_co_ci_u32_e64 v232, null, 0, v228, vcc_lo
	v_add_co_u32 v233, vcc_lo, v225, s28
	v_add_co_ci_u32_e64 v234, null, 0, v226, vcc_lo
	global_load_ushort v231, v[231:232], off
	global_load_dword v232, v[233:234], off offset:2
	s_waitcnt vmcnt(1)
	v_mul_u32_u24_e32 v231, 0x10001, v231
	s_waitcnt vmcnt(0)
	v_pk_lshrrev_b16 v233, 8, v232 op_sel:[1,0] op_sel_hi:[0,0]
	v_pk_lshrrev_b16 v232, 8, v232 op_sel:[1,1] op_sel_hi:[0,1]
	v_lshrrev_b32_e32 v234, 16, v233
	v_cvt_f16_i16_sdwa v233, sext(v233) dst_sel:DWORD dst_unused:UNUSED_PAD src0_sel:BYTE_0
	v_cvt_f16_i16_sdwa v234, sext(v234) dst_sel:DWORD dst_unused:UNUSED_PAD src0_sel:BYTE_0
	v_pack_b32_f16 v233, v233, v234
	v_lshrrev_b32_e32 v234, 16, v232
	v_cvt_f16_i16_sdwa v232, sext(v232) dst_sel:DWORD dst_unused:UNUSED_PAD src0_sel:BYTE_0
	v_pk_mul_f16 v233, v233, v231
	v_cvt_f16_i16_sdwa v234, sext(v234) dst_sel:DWORD dst_unused:UNUSED_PAD src0_sel:BYTE_0
	v_pk_fma_f16 v235, v233, v30, v235
	v_pack_b32_f16 v232, v232, v234
	v_pk_fma_f16 v237, v233, v34, v237
	v_pk_mul_f16 v231, v232, v231
	v_pk_fma_f16 v30, v231, v30, v236
	v_pk_fma_f16 v34, v231, v34, v238
	v_add_co_u32 v231, vcc_lo, v223, s28
	v_add_co_ci_u32_e64 v232, null, 0, v224, vcc_lo
	v_add_co_u32 v233, vcc_lo, v221, s28
	v_add_co_ci_u32_e64 v234, null, 0, v222, vcc_lo
	global_load_ushort v231, v[231:232], off
	v_mul_u32_u24_sdwa v236, v31, v229 dst_sel:DWORD dst_unused:UNUSED_PAD src0_sel:WORD_0 src1_sel:DWORD
	v_mul_u32_u24_sdwa v238, v35, v229 dst_sel:DWORD dst_unused:UNUSED_PAD src0_sel:WORD_0 src1_sel:DWORD
	global_load_dword v232, v[233:234], off offset:2
	s_waitcnt vmcnt(1)
	v_mul_u32_u24_e32 v231, 0x10001, v231
	s_waitcnt vmcnt(0)
	v_pk_lshrrev_b16 v233, 8, v232 op_sel:[1,0] op_sel_hi:[0,0]
	v_pk_lshrrev_b16 v232, 8, v232 op_sel:[1,1] op_sel_hi:[0,1]
	v_lshrrev_b32_e32 v234, 16, v233
	v_cvt_f16_i16_sdwa v233, sext(v233) dst_sel:DWORD dst_unused:UNUSED_PAD src0_sel:BYTE_0
	v_cvt_f16_i16_sdwa v234, sext(v234) dst_sel:DWORD dst_unused:UNUSED_PAD src0_sel:BYTE_0
	v_pack_b32_f16 v233, v233, v234
	v_lshrrev_b32_e32 v234, 16, v232
	v_cvt_f16_i16_sdwa v232, sext(v232) dst_sel:DWORD dst_unused:UNUSED_PAD src0_sel:BYTE_0
	v_pk_mul_f16 v233, v233, v231
	v_cvt_f16_i16_sdwa v234, sext(v234) dst_sel:DWORD dst_unused:UNUSED_PAD src0_sel:BYTE_0
	v_pack_b32_f16 v232, v232, v234
	v_pk_mul_f16 v231, v232, v231
	v_pk_fma_f16 v232, v233, v236, v235
	v_mul_u32_u24_sdwa v235, v31, v229 dst_sel:DWORD dst_unused:UNUSED_PAD src0_sel:WORD_1 src1_sel:DWORD
	v_pk_fma_f16 v233, v233, v238, v237
	v_pk_fma_f16 v234, v231, v236, v30
	v_add_co_u32 v30, vcc_lo, v219, s28
	v_pk_fma_f16 v231, v231, v238, v34
	v_add_co_ci_u32_e64 v31, null, 0, v220, vcc_lo
	v_add_co_u32 v34, vcc_lo, v217, s28
	v_mul_u32_u24_sdwa v236, v35, v229 dst_sel:DWORD dst_unused:UNUSED_PAD src0_sel:WORD_1 src1_sel:DWORD
	v_add_co_ci_u32_e64 v35, null, 0, v218, vcc_lo
	global_load_ushort v30, v[30:31], off
	global_load_dword v31, v[34:35], off offset:2
	s_waitcnt vmcnt(1)
	v_mul_u32_u24_e32 v30, 0x10001, v30
	s_waitcnt vmcnt(0)
	v_pk_lshrrev_b16 v34, 8, v31 op_sel:[1,0] op_sel_hi:[0,0]
	v_pk_lshrrev_b16 v31, 8, v31 op_sel:[1,1] op_sel_hi:[0,1]
	v_lshrrev_b32_e32 v35, 16, v34
	v_cvt_f16_i16_sdwa v34, sext(v34) dst_sel:DWORD dst_unused:UNUSED_PAD src0_sel:BYTE_0
	v_cvt_f16_i16_sdwa v35, sext(v35) dst_sel:DWORD dst_unused:UNUSED_PAD src0_sel:BYTE_0
	v_pack_b32_f16 v34, v34, v35
	v_lshrrev_b32_e32 v35, 16, v31
	v_cvt_f16_i16_sdwa v31, sext(v31) dst_sel:DWORD dst_unused:UNUSED_PAD src0_sel:BYTE_0
	v_pk_mul_f16 v34, v34, v30
	v_cvt_f16_i16_sdwa v35, sext(v35) dst_sel:DWORD dst_unused:UNUSED_PAD src0_sel:BYTE_0
	v_pk_fma_f16 v232, v34, v235, v232
	v_pack_b32_f16 v31, v31, v35
	v_pk_fma_f16 v233, v34, v236, v233
	v_pk_mul_f16 v30, v31, v30
	v_pk_fma_f16 v234, v30, v235, v234
	v_pk_fma_f16 v231, v30, v236, v231
	v_add_co_u32 v30, vcc_lo, v215, s28
	v_add_co_ci_u32_e64 v31, null, 0, v216, vcc_lo
	v_add_co_u32 v34, vcc_lo, v213, s28
	v_add_co_ci_u32_e64 v35, null, 0, v214, vcc_lo
	global_load_ushort v30, v[30:31], off
	v_mul_u32_u24_sdwa v235, v32, v229 dst_sel:DWORD dst_unused:UNUSED_PAD src0_sel:WORD_0 src1_sel:DWORD
	v_mul_u32_u24_sdwa v236, v36, v229 dst_sel:DWORD dst_unused:UNUSED_PAD src0_sel:WORD_0 src1_sel:DWORD
	global_load_dword v31, v[34:35], off offset:2
	v_mul_u32_u24_sdwa v32, v32, v229 dst_sel:DWORD dst_unused:UNUSED_PAD src0_sel:WORD_1 src1_sel:DWORD
	v_mul_u32_u24_sdwa v36, v36, v229 dst_sel:DWORD dst_unused:UNUSED_PAD src0_sel:WORD_1 src1_sel:DWORD
	s_waitcnt vmcnt(1)
	v_mul_u32_u24_e32 v30, 0x10001, v30
	s_waitcnt vmcnt(0)
	v_pk_lshrrev_b16 v34, 8, v31 op_sel:[1,0] op_sel_hi:[0,0]
	v_pk_lshrrev_b16 v31, 8, v31 op_sel:[1,1] op_sel_hi:[0,1]
	v_lshrrev_b32_e32 v35, 16, v34
	v_cvt_f16_i16_sdwa v34, sext(v34) dst_sel:DWORD dst_unused:UNUSED_PAD src0_sel:BYTE_0
	v_cvt_f16_i16_sdwa v35, sext(v35) dst_sel:DWORD dst_unused:UNUSED_PAD src0_sel:BYTE_0
	v_pack_b32_f16 v34, v34, v35
	v_lshrrev_b32_e32 v35, 16, v31
	v_cvt_f16_i16_sdwa v31, sext(v31) dst_sel:DWORD dst_unused:UNUSED_PAD src0_sel:BYTE_0
	v_pk_mul_f16 v34, v34, v30
	v_cvt_f16_i16_sdwa v35, sext(v35) dst_sel:DWORD dst_unused:UNUSED_PAD src0_sel:BYTE_0
	v_pk_fma_f16 v232, v34, v235, v232
	v_pack_b32_f16 v31, v31, v35
	v_pk_fma_f16 v233, v34, v236, v233
	v_pk_mul_f16 v30, v31, v30
	v_pk_fma_f16 v234, v30, v235, v234
	v_pk_fma_f16 v231, v30, v236, v231
	v_add_co_u32 v30, vcc_lo, v211, s28
	v_add_co_ci_u32_e64 v31, null, 0, v212, vcc_lo
	v_add_co_u32 v34, vcc_lo, v209, s28
	v_add_co_ci_u32_e64 v35, null, 0, v210, vcc_lo
	global_load_ushort v30, v[30:31], off
	v_mul_u32_u24_sdwa v235, v26, v229 dst_sel:DWORD dst_unused:UNUSED_PAD src0_sel:WORD_0 src1_sel:DWORD
	v_mul_u32_u24_sdwa v26, v26, v229 dst_sel:DWORD dst_unused:UNUSED_PAD src0_sel:WORD_1 src1_sel:DWORD
	global_load_dword v31, v[34:35], off offset:2
	s_waitcnt vmcnt(1)
	v_mul_u32_u24_e32 v30, 0x10001, v30
	s_waitcnt vmcnt(0)
	v_pk_lshrrev_b16 v34, 8, v31 op_sel:[1,0] op_sel_hi:[0,0]
	v_pk_lshrrev_b16 v31, 8, v31 op_sel:[1,1] op_sel_hi:[0,1]
	v_lshrrev_b32_e32 v35, 16, v34
	v_cvt_f16_i16_sdwa v34, sext(v34) dst_sel:DWORD dst_unused:UNUSED_PAD src0_sel:BYTE_0
	v_cvt_f16_i16_sdwa v35, sext(v35) dst_sel:DWORD dst_unused:UNUSED_PAD src0_sel:BYTE_0
	v_pack_b32_f16 v34, v34, v35
	v_lshrrev_b32_e32 v35, 16, v31
	v_cvt_f16_i16_sdwa v31, sext(v31) dst_sel:DWORD dst_unused:UNUSED_PAD src0_sel:BYTE_0
	v_pk_mul_f16 v34, v34, v30
	v_cvt_f16_i16_sdwa v35, sext(v35) dst_sel:DWORD dst_unused:UNUSED_PAD src0_sel:BYTE_0
	v_pk_fma_f16 v232, v34, v32, v232
	v_pack_b32_f16 v31, v31, v35
	v_pk_fma_f16 v233, v34, v36, v233
	v_pk_mul_f16 v30, v31, v30
	v_pk_fma_f16 v32, v30, v32, v234
	v_pk_fma_f16 v36, v30, v36, v231
	v_add_co_u32 v30, vcc_lo, v207, s28
	v_add_co_ci_u32_e64 v31, null, 0, v208, vcc_lo
	v_add_co_u32 v34, vcc_lo, v205, s28
	v_add_co_ci_u32_e64 v35, null, 0, v206, vcc_lo
	global_load_ushort v30, v[30:31], off
	v_mul_u32_u24_sdwa v231, v33, v229 dst_sel:DWORD dst_unused:UNUSED_PAD src0_sel:WORD_0 src1_sel:DWORD
	v_mul_u32_u24_sdwa v234, v37, v229 dst_sel:DWORD dst_unused:UNUSED_PAD src0_sel:WORD_0 src1_sel:DWORD
	global_load_dword v31, v[34:35], off offset:2
	v_mul_u32_u24_sdwa v37, v37, v229 dst_sel:DWORD dst_unused:UNUSED_PAD src0_sel:WORD_1 src1_sel:DWORD
	s_waitcnt vmcnt(1)
	v_mul_u32_u24_e32 v30, 0x10001, v30
	s_waitcnt vmcnt(0)
	v_pk_lshrrev_b16 v34, 8, v31 op_sel:[1,0] op_sel_hi:[0,0]
	v_pk_lshrrev_b16 v31, 8, v31 op_sel:[1,1] op_sel_hi:[0,1]
	v_lshrrev_b32_e32 v35, 16, v34
	v_cvt_f16_i16_sdwa v34, sext(v34) dst_sel:DWORD dst_unused:UNUSED_PAD src0_sel:BYTE_0
	v_cvt_f16_i16_sdwa v35, sext(v35) dst_sel:DWORD dst_unused:UNUSED_PAD src0_sel:BYTE_0
	v_pack_b32_f16 v34, v34, v35
	v_lshrrev_b32_e32 v35, 16, v31
	v_cvt_f16_i16_sdwa v31, sext(v31) dst_sel:DWORD dst_unused:UNUSED_PAD src0_sel:BYTE_0
	v_pk_mul_f16 v34, v34, v30
	v_cvt_f16_i16_sdwa v35, sext(v35) dst_sel:DWORD dst_unused:UNUSED_PAD src0_sel:BYTE_0
	v_pack_b32_f16 v31, v31, v35
	v_pk_fma_f16 v35, v34, v231, v232
	v_mul_u32_u24_sdwa v232, v33, v229 dst_sel:DWORD dst_unused:UNUSED_PAD src0_sel:WORD_1 src1_sel:DWORD
	v_pk_fma_f16 v34, v34, v234, v233
	v_pk_mul_f16 v30, v31, v30
	v_pk_fma_f16 v231, v30, v231, v32
	v_pk_fma_f16 v36, v30, v234, v36
	v_add_co_u32 v30, vcc_lo, v203, s28
	v_add_co_ci_u32_e64 v31, null, 0, v204, vcc_lo
	v_add_co_u32 v32, vcc_lo, v201, s28
	v_add_co_ci_u32_e64 v33, null, 0, v202, vcc_lo
	global_load_ushort v30, v[30:31], off
	global_load_dword v31, v[32:33], off offset:2
	s_waitcnt vmcnt(1)
	v_mul_u32_u24_e32 v30, 0x10001, v30
	s_waitcnt vmcnt(0)
	v_pk_lshrrev_b16 v32, 8, v31 op_sel:[1,0] op_sel_hi:[0,0]
	v_pk_lshrrev_b16 v31, 8, v31 op_sel:[1,1] op_sel_hi:[0,1]
	v_lshrrev_b32_e32 v33, 16, v32
	v_cvt_f16_i16_sdwa v32, sext(v32) dst_sel:DWORD dst_unused:UNUSED_PAD src0_sel:BYTE_0
	v_cvt_f16_i16_sdwa v33, sext(v33) dst_sel:DWORD dst_unused:UNUSED_PAD src0_sel:BYTE_0
	v_pack_b32_f16 v32, v32, v33
	v_lshrrev_b32_e32 v33, 16, v31
	v_cvt_f16_i16_sdwa v31, sext(v31) dst_sel:DWORD dst_unused:UNUSED_PAD src0_sel:BYTE_0
	v_pk_mul_f16 v32, v32, v30
	v_cvt_f16_i16_sdwa v33, sext(v33) dst_sel:DWORD dst_unused:UNUSED_PAD src0_sel:BYTE_0
	v_pk_fma_f16 v234, v32, v37, v34
	v_pack_b32_f16 v31, v31, v33
	v_add_co_u32 v34, vcc_lo, v199, s28
	v_pk_fma_f16 v233, v32, v232, v35
	v_add_co_ci_u32_e64 v35, null, 0, v200, vcc_lo
	v_pk_mul_f16 v30, v31, v30
	global_load_ushort v34, v[34:35], off
	v_pk_fma_f16 v231, v30, v232, v231
	v_pk_fma_f16 v232, v30, v37, v36
	v_add_co_u32 v36, vcc_lo, v197, s28
	v_add_co_ci_u32_e64 v37, null, 0, v198, vcc_lo
	ds_read_b128 v[30:33], v88 offset:272
	global_load_dword v35, v[36:37], off offset:2
	s_waitcnt lgkmcnt(0)
	v_mul_u32_u24_sdwa v236, v30, v229 dst_sel:DWORD dst_unused:UNUSED_PAD src0_sel:WORD_0 src1_sel:DWORD
	v_mul_u32_u24_sdwa v30, v30, v229 dst_sel:DWORD dst_unused:UNUSED_PAD src0_sel:WORD_1 src1_sel:DWORD
	s_waitcnt vmcnt(1)
	v_mul_u32_u24_e32 v34, 0x10001, v34
	s_waitcnt vmcnt(0)
	v_pk_lshrrev_b16 v36, 8, v35 op_sel:[1,0] op_sel_hi:[0,0]
	v_pk_lshrrev_b16 v35, 8, v35 op_sel:[1,1] op_sel_hi:[0,1]
	v_lshrrev_b32_e32 v37, 16, v36
	v_cvt_f16_i16_sdwa v36, sext(v36) dst_sel:DWORD dst_unused:UNUSED_PAD src0_sel:BYTE_0
	v_cvt_f16_i16_sdwa v37, sext(v37) dst_sel:DWORD dst_unused:UNUSED_PAD src0_sel:BYTE_0
	v_pack_b32_f16 v36, v36, v37
	v_lshrrev_b32_e32 v37, 16, v35
	v_cvt_f16_i16_sdwa v35, sext(v35) dst_sel:DWORD dst_unused:UNUSED_PAD src0_sel:BYTE_0
	v_pk_mul_f16 v36, v36, v34
	v_cvt_f16_i16_sdwa v37, sext(v37) dst_sel:DWORD dst_unused:UNUSED_PAD src0_sel:BYTE_0
	v_pk_fma_f16 v233, v36, v235, v233
	v_pack_b32_f16 v35, v35, v37
	v_pk_fma_f16 v234, v36, v236, v234
	v_pk_mul_f16 v34, v35, v34
	v_pk_fma_f16 v231, v34, v235, v231
	v_pk_fma_f16 v232, v34, v236, v232
	v_add_co_u32 v34, vcc_lo, v195, s28
	v_add_co_ci_u32_e64 v35, null, 0, v196, vcc_lo
	v_add_co_u32 v36, vcc_lo, v193, s28
	v_add_co_ci_u32_e64 v37, null, 0, v194, vcc_lo
	global_load_ushort v34, v[34:35], off
	global_load_dword v35, v[36:37], off offset:2
	s_waitcnt vmcnt(1)
	v_mul_u32_u24_e32 v34, 0x10001, v34
	s_waitcnt vmcnt(0)
	v_pk_lshrrev_b16 v36, 8, v35 op_sel:[1,0] op_sel_hi:[0,0]
	v_pk_lshrrev_b16 v35, 8, v35 op_sel:[1,1] op_sel_hi:[0,1]
	v_lshrrev_b32_e32 v37, 16, v36
	v_cvt_f16_i16_sdwa v36, sext(v36) dst_sel:DWORD dst_unused:UNUSED_PAD src0_sel:BYTE_0
	v_cvt_f16_i16_sdwa v37, sext(v37) dst_sel:DWORD dst_unused:UNUSED_PAD src0_sel:BYTE_0
	v_pack_b32_f16 v36, v36, v37
	v_lshrrev_b32_e32 v37, 16, v35
	v_cvt_f16_i16_sdwa v35, sext(v35) dst_sel:DWORD dst_unused:UNUSED_PAD src0_sel:BYTE_0
	v_pk_mul_f16 v36, v36, v34
	v_cvt_f16_i16_sdwa v37, sext(v37) dst_sel:DWORD dst_unused:UNUSED_PAD src0_sel:BYTE_0
	v_pk_fma_f16 v233, v36, v26, v233
	v_pack_b32_f16 v35, v35, v37
	v_pk_fma_f16 v234, v36, v30, v234
	v_pk_mul_f16 v34, v35, v34
	v_pk_fma_f16 v26, v34, v26, v231
	v_pk_fma_f16 v30, v34, v30, v232
	v_add_co_u32 v34, vcc_lo, v191, s28
	v_add_co_ci_u32_e64 v35, null, 0, v192, vcc_lo
	v_add_co_u32 v36, vcc_lo, v189, s28
	v_add_co_ci_u32_e64 v37, null, 0, v190, vcc_lo
	global_load_ushort v34, v[34:35], off
	v_mul_u32_u24_sdwa v231, v27, v229 dst_sel:DWORD dst_unused:UNUSED_PAD src0_sel:WORD_0 src1_sel:DWORD
	v_mul_u32_u24_sdwa v232, v31, v229 dst_sel:DWORD dst_unused:UNUSED_PAD src0_sel:WORD_0 src1_sel:DWORD
	global_load_dword v35, v[36:37], off offset:2
	s_waitcnt vmcnt(1)
	v_mul_u32_u24_e32 v34, 0x10001, v34
	s_waitcnt vmcnt(0)
	v_pk_lshrrev_b16 v36, 8, v35 op_sel:[1,0] op_sel_hi:[0,0]
	v_pk_lshrrev_b16 v35, 8, v35 op_sel:[1,1] op_sel_hi:[0,1]
	v_lshrrev_b32_e32 v37, 16, v36
	v_cvt_f16_i16_sdwa v36, sext(v36) dst_sel:DWORD dst_unused:UNUSED_PAD src0_sel:BYTE_0
	v_cvt_f16_i16_sdwa v37, sext(v37) dst_sel:DWORD dst_unused:UNUSED_PAD src0_sel:BYTE_0
	v_pack_b32_f16 v36, v36, v37
	v_lshrrev_b32_e32 v37, 16, v35
	v_cvt_f16_i16_sdwa v35, sext(v35) dst_sel:DWORD dst_unused:UNUSED_PAD src0_sel:BYTE_0
	v_pk_mul_f16 v36, v36, v34
	v_cvt_f16_i16_sdwa v37, sext(v37) dst_sel:DWORD dst_unused:UNUSED_PAD src0_sel:BYTE_0
	v_pack_b32_f16 v35, v35, v37
	v_pk_mul_f16 v34, v35, v34
	v_pk_fma_f16 v35, v36, v231, v233
	v_pk_fma_f16 v36, v36, v232, v234
	;; [unrolled: 1-line block ×3, first 2 shown]
	v_add_co_u32 v26, vcc_lo, v187, s28
	v_pk_fma_f16 v34, v34, v232, v30
	v_mul_u32_u24_sdwa v231, v27, v229 dst_sel:DWORD dst_unused:UNUSED_PAD src0_sel:WORD_1 src1_sel:DWORD
	v_add_co_ci_u32_e64 v27, null, 0, v188, vcc_lo
	v_add_co_u32 v30, vcc_lo, v185, s28
	v_mul_u32_u24_sdwa v232, v31, v229 dst_sel:DWORD dst_unused:UNUSED_PAD src0_sel:WORD_1 src1_sel:DWORD
	v_add_co_ci_u32_e64 v31, null, 0, v186, vcc_lo
	global_load_ushort v26, v[26:27], off
	global_load_dword v27, v[30:31], off offset:2
	s_waitcnt vmcnt(1)
	v_mul_u32_u24_e32 v26, 0x10001, v26
	s_waitcnt vmcnt(0)
	v_pk_lshrrev_b16 v30, 8, v27 op_sel:[1,0] op_sel_hi:[0,0]
	v_pk_lshrrev_b16 v27, 8, v27 op_sel:[1,1] op_sel_hi:[0,1]
	v_lshrrev_b32_e32 v31, 16, v30
	v_cvt_f16_i16_sdwa v30, sext(v30) dst_sel:DWORD dst_unused:UNUSED_PAD src0_sel:BYTE_0
	v_cvt_f16_i16_sdwa v31, sext(v31) dst_sel:DWORD dst_unused:UNUSED_PAD src0_sel:BYTE_0
	v_pack_b32_f16 v30, v30, v31
	v_lshrrev_b32_e32 v31, 16, v27
	v_cvt_f16_i16_sdwa v27, sext(v27) dst_sel:DWORD dst_unused:UNUSED_PAD src0_sel:BYTE_0
	v_pk_mul_f16 v30, v30, v26
	v_cvt_f16_i16_sdwa v31, sext(v31) dst_sel:DWORD dst_unused:UNUSED_PAD src0_sel:BYTE_0
	v_pk_fma_f16 v35, v30, v231, v35
	v_pack_b32_f16 v27, v27, v31
	v_pk_fma_f16 v36, v30, v232, v36
	v_pk_mul_f16 v26, v27, v26
	v_pk_fma_f16 v37, v26, v231, v37
	v_pk_fma_f16 v34, v26, v232, v34
	v_add_co_u32 v26, vcc_lo, v183, s28
	v_add_co_ci_u32_e64 v27, null, 0, v184, vcc_lo
	v_add_co_u32 v30, vcc_lo, v181, s28
	v_add_co_ci_u32_e64 v31, null, 0, v182, vcc_lo
	global_load_ushort v26, v[26:27], off
	v_mul_u32_u24_sdwa v231, v28, v229 dst_sel:DWORD dst_unused:UNUSED_PAD src0_sel:WORD_0 src1_sel:DWORD
	v_mul_u32_u24_sdwa v232, v32, v229 dst_sel:DWORD dst_unused:UNUSED_PAD src0_sel:WORD_0 src1_sel:DWORD
	global_load_dword v27, v[30:31], off offset:2
	v_mul_u32_u24_sdwa v28, v28, v229 dst_sel:DWORD dst_unused:UNUSED_PAD src0_sel:WORD_1 src1_sel:DWORD
	v_mul_u32_u24_sdwa v32, v32, v229 dst_sel:DWORD dst_unused:UNUSED_PAD src0_sel:WORD_1 src1_sel:DWORD
	s_waitcnt vmcnt(1)
	v_mul_u32_u24_e32 v26, 0x10001, v26
	s_waitcnt vmcnt(0)
	v_pk_lshrrev_b16 v30, 8, v27 op_sel:[1,0] op_sel_hi:[0,0]
	v_pk_lshrrev_b16 v27, 8, v27 op_sel:[1,1] op_sel_hi:[0,1]
	v_lshrrev_b32_e32 v31, 16, v30
	v_cvt_f16_i16_sdwa v30, sext(v30) dst_sel:DWORD dst_unused:UNUSED_PAD src0_sel:BYTE_0
	v_cvt_f16_i16_sdwa v31, sext(v31) dst_sel:DWORD dst_unused:UNUSED_PAD src0_sel:BYTE_0
	v_pack_b32_f16 v30, v30, v31
	v_lshrrev_b32_e32 v31, 16, v27
	v_cvt_f16_i16_sdwa v27, sext(v27) dst_sel:DWORD dst_unused:UNUSED_PAD src0_sel:BYTE_0
	v_pk_mul_f16 v30, v30, v26
	v_cvt_f16_i16_sdwa v31, sext(v31) dst_sel:DWORD dst_unused:UNUSED_PAD src0_sel:BYTE_0
	v_pk_fma_f16 v35, v30, v231, v35
	v_pack_b32_f16 v27, v27, v31
	v_pk_fma_f16 v36, v30, v232, v36
	v_pk_mul_f16 v26, v27, v26
	v_pk_fma_f16 v37, v26, v231, v37
	v_pk_fma_f16 v34, v26, v232, v34
	v_add_co_u32 v26, vcc_lo, v179, s28
	v_add_co_ci_u32_e64 v27, null, 0, v180, vcc_lo
	v_add_co_u32 v30, vcc_lo, v177, s28
	v_add_co_ci_u32_e64 v31, null, 0, v178, vcc_lo
	global_load_ushort v26, v[26:27], off
	v_mul_u32_u24_sdwa v231, v22, v229 dst_sel:DWORD dst_unused:UNUSED_PAD src0_sel:WORD_0 src1_sel:DWORD
	v_mul_u32_u24_sdwa v22, v22, v229 dst_sel:DWORD dst_unused:UNUSED_PAD src0_sel:WORD_1 src1_sel:DWORD
	global_load_dword v27, v[30:31], off offset:2
	s_waitcnt vmcnt(1)
	v_mul_u32_u24_e32 v26, 0x10001, v26
	s_waitcnt vmcnt(0)
	v_pk_lshrrev_b16 v30, 8, v27 op_sel:[1,0] op_sel_hi:[0,0]
	v_pk_lshrrev_b16 v27, 8, v27 op_sel:[1,1] op_sel_hi:[0,1]
	v_lshrrev_b32_e32 v31, 16, v30
	v_cvt_f16_i16_sdwa v30, sext(v30) dst_sel:DWORD dst_unused:UNUSED_PAD src0_sel:BYTE_0
	v_cvt_f16_i16_sdwa v31, sext(v31) dst_sel:DWORD dst_unused:UNUSED_PAD src0_sel:BYTE_0
	v_pack_b32_f16 v30, v30, v31
	v_lshrrev_b32_e32 v31, 16, v27
	v_cvt_f16_i16_sdwa v27, sext(v27) dst_sel:DWORD dst_unused:UNUSED_PAD src0_sel:BYTE_0
	v_pk_mul_f16 v30, v30, v26
	v_cvt_f16_i16_sdwa v31, sext(v31) dst_sel:DWORD dst_unused:UNUSED_PAD src0_sel:BYTE_0
	v_pk_fma_f16 v35, v30, v28, v35
	v_pack_b32_f16 v27, v27, v31
	v_pk_fma_f16 v36, v30, v32, v36
	v_pk_mul_f16 v26, v27, v26
	v_pk_fma_f16 v28, v26, v28, v37
	v_pk_fma_f16 v32, v26, v32, v34
	v_add_co_u32 v26, vcc_lo, v175, s28
	v_add_co_ci_u32_e64 v27, null, 0, v176, vcc_lo
	v_add_co_u32 v30, vcc_lo, v173, s28
	v_add_co_ci_u32_e64 v31, null, 0, v174, vcc_lo
	global_load_ushort v26, v[26:27], off
	v_mul_u32_u24_sdwa v34, v29, v229 dst_sel:DWORD dst_unused:UNUSED_PAD src0_sel:WORD_0 src1_sel:DWORD
	v_mul_u32_u24_sdwa v37, v33, v229 dst_sel:DWORD dst_unused:UNUSED_PAD src0_sel:WORD_0 src1_sel:DWORD
	global_load_dword v27, v[30:31], off offset:2
	v_mul_u32_u24_sdwa v33, v33, v229 dst_sel:DWORD dst_unused:UNUSED_PAD src0_sel:WORD_1 src1_sel:DWORD
	s_waitcnt vmcnt(1)
	v_mul_u32_u24_e32 v26, 0x10001, v26
	s_waitcnt vmcnt(0)
	v_pk_lshrrev_b16 v30, 8, v27 op_sel:[1,0] op_sel_hi:[0,0]
	v_pk_lshrrev_b16 v27, 8, v27 op_sel:[1,1] op_sel_hi:[0,1]
	v_lshrrev_b32_e32 v31, 16, v30
	v_cvt_f16_i16_sdwa v30, sext(v30) dst_sel:DWORD dst_unused:UNUSED_PAD src0_sel:BYTE_0
	v_cvt_f16_i16_sdwa v31, sext(v31) dst_sel:DWORD dst_unused:UNUSED_PAD src0_sel:BYTE_0
	v_pack_b32_f16 v30, v30, v31
	v_lshrrev_b32_e32 v31, 16, v27
	v_cvt_f16_i16_sdwa v27, sext(v27) dst_sel:DWORD dst_unused:UNUSED_PAD src0_sel:BYTE_0
	v_pk_mul_f16 v30, v30, v26
	v_cvt_f16_i16_sdwa v31, sext(v31) dst_sel:DWORD dst_unused:UNUSED_PAD src0_sel:BYTE_0
	v_pack_b32_f16 v27, v27, v31
	v_pk_fma_f16 v31, v30, v34, v35
	v_mul_u32_u24_sdwa v35, v29, v229 dst_sel:DWORD dst_unused:UNUSED_PAD src0_sel:WORD_1 src1_sel:DWORD
	v_pk_fma_f16 v30, v30, v37, v36
	v_pk_mul_f16 v26, v27, v26
	v_pk_fma_f16 v34, v26, v34, v28
	v_pk_fma_f16 v32, v26, v37, v32
	v_add_co_u32 v26, vcc_lo, v171, s28
	v_add_co_ci_u32_e64 v27, null, 0, v172, vcc_lo
	v_add_co_u32 v28, vcc_lo, v169, s28
	v_add_co_ci_u32_e64 v29, null, 0, v170, vcc_lo
	global_load_ushort v26, v[26:27], off
	global_load_dword v27, v[28:29], off offset:2
	s_waitcnt vmcnt(1)
	v_mul_u32_u24_e32 v26, 0x10001, v26
	s_waitcnt vmcnt(0)
	v_pk_lshrrev_b16 v28, 8, v27 op_sel:[1,0] op_sel_hi:[0,0]
	v_pk_lshrrev_b16 v27, 8, v27 op_sel:[1,1] op_sel_hi:[0,1]
	v_lshrrev_b32_e32 v29, 16, v28
	v_cvt_f16_i16_sdwa v28, sext(v28) dst_sel:DWORD dst_unused:UNUSED_PAD src0_sel:BYTE_0
	v_cvt_f16_i16_sdwa v29, sext(v29) dst_sel:DWORD dst_unused:UNUSED_PAD src0_sel:BYTE_0
	v_pack_b32_f16 v28, v28, v29
	v_lshrrev_b32_e32 v29, 16, v27
	v_cvt_f16_i16_sdwa v27, sext(v27) dst_sel:DWORD dst_unused:UNUSED_PAD src0_sel:BYTE_0
	v_pk_mul_f16 v28, v28, v26
	v_cvt_f16_i16_sdwa v29, sext(v29) dst_sel:DWORD dst_unused:UNUSED_PAD src0_sel:BYTE_0
	v_pk_fma_f16 v37, v28, v33, v30
	v_pack_b32_f16 v27, v27, v29
	v_add_co_u32 v30, vcc_lo, v167, s28
	v_pk_fma_f16 v36, v28, v35, v31
	v_add_co_ci_u32_e64 v31, null, 0, v168, vcc_lo
	v_pk_mul_f16 v26, v27, v26
	global_load_ushort v30, v[30:31], off
	v_pk_fma_f16 v34, v26, v35, v34
	v_pk_fma_f16 v35, v26, v33, v32
	v_add_co_u32 v32, vcc_lo, v165, s28
	v_add_co_ci_u32_e64 v33, null, 0, v166, vcc_lo
	ds_read_b128 v[26:29], v88 offset:288
	global_load_dword v31, v[32:33], off offset:2
	s_waitcnt lgkmcnt(0)
	v_mul_u32_u24_sdwa v232, v26, v229 dst_sel:DWORD dst_unused:UNUSED_PAD src0_sel:WORD_0 src1_sel:DWORD
	v_mul_u32_u24_sdwa v26, v26, v229 dst_sel:DWORD dst_unused:UNUSED_PAD src0_sel:WORD_1 src1_sel:DWORD
	s_waitcnt vmcnt(1)
	v_mul_u32_u24_e32 v30, 0x10001, v30
	s_waitcnt vmcnt(0)
	v_pk_lshrrev_b16 v32, 8, v31 op_sel:[1,0] op_sel_hi:[0,0]
	v_pk_lshrrev_b16 v31, 8, v31 op_sel:[1,1] op_sel_hi:[0,1]
	v_lshrrev_b32_e32 v33, 16, v32
	v_cvt_f16_i16_sdwa v32, sext(v32) dst_sel:DWORD dst_unused:UNUSED_PAD src0_sel:BYTE_0
	v_cvt_f16_i16_sdwa v33, sext(v33) dst_sel:DWORD dst_unused:UNUSED_PAD src0_sel:BYTE_0
	v_pack_b32_f16 v32, v32, v33
	v_lshrrev_b32_e32 v33, 16, v31
	v_cvt_f16_i16_sdwa v31, sext(v31) dst_sel:DWORD dst_unused:UNUSED_PAD src0_sel:BYTE_0
	v_pk_mul_f16 v32, v32, v30
	v_cvt_f16_i16_sdwa v33, sext(v33) dst_sel:DWORD dst_unused:UNUSED_PAD src0_sel:BYTE_0
	v_pk_fma_f16 v36, v32, v231, v36
	v_pack_b32_f16 v31, v31, v33
	v_pk_fma_f16 v37, v32, v232, v37
	v_pk_mul_f16 v30, v31, v30
	v_pk_fma_f16 v34, v30, v231, v34
	v_pk_fma_f16 v35, v30, v232, v35
	v_add_co_u32 v30, vcc_lo, v163, s28
	v_add_co_ci_u32_e64 v31, null, 0, v164, vcc_lo
	v_add_co_u32 v32, vcc_lo, v161, s28
	v_add_co_ci_u32_e64 v33, null, 0, v162, vcc_lo
	global_load_ushort v30, v[30:31], off
	global_load_dword v31, v[32:33], off offset:2
	s_waitcnt vmcnt(1)
	v_mul_u32_u24_e32 v30, 0x10001, v30
	s_waitcnt vmcnt(0)
	v_pk_lshrrev_b16 v32, 8, v31 op_sel:[1,0] op_sel_hi:[0,0]
	v_pk_lshrrev_b16 v31, 8, v31 op_sel:[1,1] op_sel_hi:[0,1]
	v_lshrrev_b32_e32 v33, 16, v32
	v_cvt_f16_i16_sdwa v32, sext(v32) dst_sel:DWORD dst_unused:UNUSED_PAD src0_sel:BYTE_0
	v_cvt_f16_i16_sdwa v33, sext(v33) dst_sel:DWORD dst_unused:UNUSED_PAD src0_sel:BYTE_0
	v_pack_b32_f16 v32, v32, v33
	v_lshrrev_b32_e32 v33, 16, v31
	v_cvt_f16_i16_sdwa v31, sext(v31) dst_sel:DWORD dst_unused:UNUSED_PAD src0_sel:BYTE_0
	v_pk_mul_f16 v32, v32, v30
	v_cvt_f16_i16_sdwa v33, sext(v33) dst_sel:DWORD dst_unused:UNUSED_PAD src0_sel:BYTE_0
	v_pk_fma_f16 v36, v32, v22, v36
	v_pack_b32_f16 v31, v31, v33
	v_pk_fma_f16 v37, v32, v26, v37
	v_pk_mul_f16 v30, v31, v30
	v_pk_fma_f16 v22, v30, v22, v34
	v_pk_fma_f16 v26, v30, v26, v35
	v_add_co_u32 v30, vcc_lo, v159, s28
	v_add_co_ci_u32_e64 v31, null, 0, v160, vcc_lo
	v_add_co_u32 v32, vcc_lo, v157, s28
	v_add_co_ci_u32_e64 v33, null, 0, v158, vcc_lo
	global_load_ushort v30, v[30:31], off
	v_mul_u32_u24_sdwa v34, v23, v229 dst_sel:DWORD dst_unused:UNUSED_PAD src0_sel:WORD_0 src1_sel:DWORD
	v_mul_u32_u24_sdwa v35, v27, v229 dst_sel:DWORD dst_unused:UNUSED_PAD src0_sel:WORD_0 src1_sel:DWORD
	global_load_dword v31, v[32:33], off offset:2
	s_waitcnt vmcnt(1)
	v_mul_u32_u24_e32 v30, 0x10001, v30
	s_waitcnt vmcnt(0)
	v_pk_lshrrev_b16 v32, 8, v31 op_sel:[1,0] op_sel_hi:[0,0]
	v_pk_lshrrev_b16 v31, 8, v31 op_sel:[1,1] op_sel_hi:[0,1]
	v_lshrrev_b32_e32 v33, 16, v32
	v_cvt_f16_i16_sdwa v32, sext(v32) dst_sel:DWORD dst_unused:UNUSED_PAD src0_sel:BYTE_0
	v_cvt_f16_i16_sdwa v33, sext(v33) dst_sel:DWORD dst_unused:UNUSED_PAD src0_sel:BYTE_0
	v_pack_b32_f16 v32, v32, v33
	v_lshrrev_b32_e32 v33, 16, v31
	v_cvt_f16_i16_sdwa v31, sext(v31) dst_sel:DWORD dst_unused:UNUSED_PAD src0_sel:BYTE_0
	v_pk_mul_f16 v32, v32, v30
	v_cvt_f16_i16_sdwa v33, sext(v33) dst_sel:DWORD dst_unused:UNUSED_PAD src0_sel:BYTE_0
	v_pack_b32_f16 v31, v31, v33
	v_pk_mul_f16 v30, v31, v30
	v_pk_fma_f16 v31, v32, v34, v36
	v_pk_fma_f16 v32, v32, v35, v37
	;; [unrolled: 1-line block ×3, first 2 shown]
	v_add_co_u32 v22, vcc_lo, v155, s28
	v_pk_fma_f16 v30, v30, v35, v26
	v_mul_u32_u24_sdwa v34, v23, v229 dst_sel:DWORD dst_unused:UNUSED_PAD src0_sel:WORD_1 src1_sel:DWORD
	v_add_co_ci_u32_e64 v23, null, 0, v156, vcc_lo
	v_add_co_u32 v26, vcc_lo, v153, s28
	v_mul_u32_u24_sdwa v35, v27, v229 dst_sel:DWORD dst_unused:UNUSED_PAD src0_sel:WORD_1 src1_sel:DWORD
	v_add_co_ci_u32_e64 v27, null, 0, v154, vcc_lo
	global_load_ushort v22, v[22:23], off
	global_load_dword v23, v[26:27], off offset:2
	s_waitcnt vmcnt(1)
	v_mul_u32_u24_e32 v22, 0x10001, v22
	s_waitcnt vmcnt(0)
	v_pk_lshrrev_b16 v26, 8, v23 op_sel:[1,0] op_sel_hi:[0,0]
	v_pk_lshrrev_b16 v23, 8, v23 op_sel:[1,1] op_sel_hi:[0,1]
	v_lshrrev_b32_e32 v27, 16, v26
	v_cvt_f16_i16_sdwa v26, sext(v26) dst_sel:DWORD dst_unused:UNUSED_PAD src0_sel:BYTE_0
	v_cvt_f16_i16_sdwa v27, sext(v27) dst_sel:DWORD dst_unused:UNUSED_PAD src0_sel:BYTE_0
	v_pack_b32_f16 v26, v26, v27
	v_lshrrev_b32_e32 v27, 16, v23
	v_cvt_f16_i16_sdwa v23, sext(v23) dst_sel:DWORD dst_unused:UNUSED_PAD src0_sel:BYTE_0
	v_pk_mul_f16 v26, v26, v22
	v_cvt_f16_i16_sdwa v27, sext(v27) dst_sel:DWORD dst_unused:UNUSED_PAD src0_sel:BYTE_0
	v_pk_fma_f16 v31, v26, v34, v31
	v_pack_b32_f16 v23, v23, v27
	v_pk_fma_f16 v32, v26, v35, v32
	v_pk_mul_f16 v22, v23, v22
	v_pk_fma_f16 v33, v22, v34, v33
	v_pk_fma_f16 v30, v22, v35, v30
	v_add_co_u32 v22, vcc_lo, v151, s28
	v_add_co_ci_u32_e64 v23, null, 0, v152, vcc_lo
	v_add_co_u32 v26, vcc_lo, v149, s28
	v_add_co_ci_u32_e64 v27, null, 0, v150, vcc_lo
	global_load_ushort v22, v[22:23], off
	v_mul_u32_u24_sdwa v34, v24, v229 dst_sel:DWORD dst_unused:UNUSED_PAD src0_sel:WORD_0 src1_sel:DWORD
	v_mul_u32_u24_sdwa v35, v28, v229 dst_sel:DWORD dst_unused:UNUSED_PAD src0_sel:WORD_0 src1_sel:DWORD
	global_load_dword v23, v[26:27], off offset:2
	v_mul_u32_u24_sdwa v24, v24, v229 dst_sel:DWORD dst_unused:UNUSED_PAD src0_sel:WORD_1 src1_sel:DWORD
	v_mul_u32_u24_sdwa v28, v28, v229 dst_sel:DWORD dst_unused:UNUSED_PAD src0_sel:WORD_1 src1_sel:DWORD
	s_waitcnt vmcnt(1)
	v_mul_u32_u24_e32 v22, 0x10001, v22
	s_waitcnt vmcnt(0)
	v_pk_lshrrev_b16 v26, 8, v23 op_sel:[1,0] op_sel_hi:[0,0]
	v_pk_lshrrev_b16 v23, 8, v23 op_sel:[1,1] op_sel_hi:[0,1]
	v_lshrrev_b32_e32 v27, 16, v26
	v_cvt_f16_i16_sdwa v26, sext(v26) dst_sel:DWORD dst_unused:UNUSED_PAD src0_sel:BYTE_0
	v_cvt_f16_i16_sdwa v27, sext(v27) dst_sel:DWORD dst_unused:UNUSED_PAD src0_sel:BYTE_0
	v_pack_b32_f16 v26, v26, v27
	v_lshrrev_b32_e32 v27, 16, v23
	v_cvt_f16_i16_sdwa v23, sext(v23) dst_sel:DWORD dst_unused:UNUSED_PAD src0_sel:BYTE_0
	v_pk_mul_f16 v26, v26, v22
	v_cvt_f16_i16_sdwa v27, sext(v27) dst_sel:DWORD dst_unused:UNUSED_PAD src0_sel:BYTE_0
	v_pk_fma_f16 v31, v26, v34, v31
	v_pack_b32_f16 v23, v23, v27
	v_pk_fma_f16 v32, v26, v35, v32
	v_pk_mul_f16 v22, v23, v22
	v_pk_fma_f16 v33, v22, v34, v33
	v_pk_fma_f16 v30, v22, v35, v30
	v_add_co_u32 v22, vcc_lo, v147, s28
	v_add_co_ci_u32_e64 v23, null, 0, v148, vcc_lo
	v_add_co_u32 v26, vcc_lo, v145, s28
	v_add_co_ci_u32_e64 v27, null, 0, v146, vcc_lo
	global_load_ushort v22, v[22:23], off
	v_mul_u32_u24_sdwa v34, v18, v229 dst_sel:DWORD dst_unused:UNUSED_PAD src0_sel:WORD_0 src1_sel:DWORD
	v_mul_u32_u24_sdwa v18, v18, v229 dst_sel:DWORD dst_unused:UNUSED_PAD src0_sel:WORD_1 src1_sel:DWORD
	global_load_dword v23, v[26:27], off offset:2
	s_waitcnt vmcnt(1)
	v_mul_u32_u24_e32 v22, 0x10001, v22
	s_waitcnt vmcnt(0)
	v_pk_lshrrev_b16 v26, 8, v23 op_sel:[1,0] op_sel_hi:[0,0]
	v_pk_lshrrev_b16 v23, 8, v23 op_sel:[1,1] op_sel_hi:[0,1]
	v_lshrrev_b32_e32 v27, 16, v26
	v_cvt_f16_i16_sdwa v26, sext(v26) dst_sel:DWORD dst_unused:UNUSED_PAD src0_sel:BYTE_0
	v_cvt_f16_i16_sdwa v27, sext(v27) dst_sel:DWORD dst_unused:UNUSED_PAD src0_sel:BYTE_0
	v_pack_b32_f16 v26, v26, v27
	v_lshrrev_b32_e32 v27, 16, v23
	v_cvt_f16_i16_sdwa v23, sext(v23) dst_sel:DWORD dst_unused:UNUSED_PAD src0_sel:BYTE_0
	v_pk_mul_f16 v26, v26, v22
	v_cvt_f16_i16_sdwa v27, sext(v27) dst_sel:DWORD dst_unused:UNUSED_PAD src0_sel:BYTE_0
	v_pk_fma_f16 v31, v26, v24, v31
	v_pack_b32_f16 v23, v23, v27
	v_pk_fma_f16 v32, v26, v28, v32
	v_pk_mul_f16 v22, v23, v22
	v_pk_fma_f16 v24, v22, v24, v33
	v_pk_fma_f16 v28, v22, v28, v30
	v_add_co_u32 v22, vcc_lo, v143, s28
	v_add_co_ci_u32_e64 v23, null, 0, v144, vcc_lo
	v_add_co_u32 v26, vcc_lo, v141, s28
	v_add_co_ci_u32_e64 v27, null, 0, v142, vcc_lo
	global_load_ushort v22, v[22:23], off
	v_mul_u32_u24_sdwa v30, v25, v229 dst_sel:DWORD dst_unused:UNUSED_PAD src0_sel:WORD_0 src1_sel:DWORD
	v_mul_u32_u24_sdwa v33, v29, v229 dst_sel:DWORD dst_unused:UNUSED_PAD src0_sel:WORD_0 src1_sel:DWORD
	global_load_dword v23, v[26:27], off offset:2
	v_mul_u32_u24_sdwa v29, v29, v229 dst_sel:DWORD dst_unused:UNUSED_PAD src0_sel:WORD_1 src1_sel:DWORD
	s_waitcnt vmcnt(1)
	v_mul_u32_u24_e32 v22, 0x10001, v22
	s_waitcnt vmcnt(0)
	v_pk_lshrrev_b16 v26, 8, v23 op_sel:[1,0] op_sel_hi:[0,0]
	v_pk_lshrrev_b16 v23, 8, v23 op_sel:[1,1] op_sel_hi:[0,1]
	v_lshrrev_b32_e32 v27, 16, v26
	v_cvt_f16_i16_sdwa v26, sext(v26) dst_sel:DWORD dst_unused:UNUSED_PAD src0_sel:BYTE_0
	v_cvt_f16_i16_sdwa v27, sext(v27) dst_sel:DWORD dst_unused:UNUSED_PAD src0_sel:BYTE_0
	v_pack_b32_f16 v26, v26, v27
	v_lshrrev_b32_e32 v27, 16, v23
	v_cvt_f16_i16_sdwa v23, sext(v23) dst_sel:DWORD dst_unused:UNUSED_PAD src0_sel:BYTE_0
	v_pk_mul_f16 v26, v26, v22
	v_cvt_f16_i16_sdwa v27, sext(v27) dst_sel:DWORD dst_unused:UNUSED_PAD src0_sel:BYTE_0
	v_pack_b32_f16 v23, v23, v27
	v_pk_fma_f16 v27, v26, v30, v31
	v_mul_u32_u24_sdwa v31, v25, v229 dst_sel:DWORD dst_unused:UNUSED_PAD src0_sel:WORD_1 src1_sel:DWORD
	v_pk_fma_f16 v26, v26, v33, v32
	v_pk_mul_f16 v22, v23, v22
	v_pk_fma_f16 v30, v22, v30, v24
	v_pk_fma_f16 v28, v22, v33, v28
	v_add_co_u32 v22, vcc_lo, v139, s28
	v_add_co_ci_u32_e64 v23, null, 0, v140, vcc_lo
	v_add_co_u32 v24, vcc_lo, v137, s28
	v_add_co_ci_u32_e64 v25, null, 0, v138, vcc_lo
	global_load_ushort v22, v[22:23], off
	global_load_dword v23, v[24:25], off offset:2
	s_waitcnt vmcnt(1)
	v_mul_u32_u24_e32 v22, 0x10001, v22
	s_waitcnt vmcnt(0)
	v_pk_lshrrev_b16 v24, 8, v23 op_sel:[1,0] op_sel_hi:[0,0]
	v_pk_lshrrev_b16 v23, 8, v23 op_sel:[1,1] op_sel_hi:[0,1]
	v_lshrrev_b32_e32 v25, 16, v24
	v_cvt_f16_i16_sdwa v24, sext(v24) dst_sel:DWORD dst_unused:UNUSED_PAD src0_sel:BYTE_0
	v_cvt_f16_i16_sdwa v25, sext(v25) dst_sel:DWORD dst_unused:UNUSED_PAD src0_sel:BYTE_0
	v_pack_b32_f16 v24, v24, v25
	v_lshrrev_b32_e32 v25, 16, v23
	v_cvt_f16_i16_sdwa v23, sext(v23) dst_sel:DWORD dst_unused:UNUSED_PAD src0_sel:BYTE_0
	v_pk_mul_f16 v24, v24, v22
	v_cvt_f16_i16_sdwa v25, sext(v25) dst_sel:DWORD dst_unused:UNUSED_PAD src0_sel:BYTE_0
	v_pk_fma_f16 v33, v24, v29, v26
	v_pack_b32_f16 v23, v23, v25
	v_add_co_u32 v26, vcc_lo, v135, s28
	v_pk_fma_f16 v32, v24, v31, v27
	v_add_co_ci_u32_e64 v27, null, 0, v136, vcc_lo
	v_pk_mul_f16 v22, v23, v22
	global_load_ushort v26, v[26:27], off
	v_pk_fma_f16 v30, v22, v31, v30
	v_pk_fma_f16 v31, v22, v29, v28
	v_add_co_u32 v28, vcc_lo, v133, s28
	v_add_co_ci_u32_e64 v29, null, 0, v134, vcc_lo
	ds_read_b128 v[22:25], v88 offset:304
	global_load_dword v27, v[28:29], off offset:2
	s_waitcnt lgkmcnt(0)
	v_mul_u32_u24_sdwa v35, v22, v229 dst_sel:DWORD dst_unused:UNUSED_PAD src0_sel:WORD_0 src1_sel:DWORD
	v_mul_u32_u24_sdwa v22, v22, v229 dst_sel:DWORD dst_unused:UNUSED_PAD src0_sel:WORD_1 src1_sel:DWORD
	s_waitcnt vmcnt(1)
	v_mul_u32_u24_e32 v26, 0x10001, v26
	s_waitcnt vmcnt(0)
	v_pk_lshrrev_b16 v28, 8, v27 op_sel:[1,0] op_sel_hi:[0,0]
	v_pk_lshrrev_b16 v27, 8, v27 op_sel:[1,1] op_sel_hi:[0,1]
	v_lshrrev_b32_e32 v29, 16, v28
	v_cvt_f16_i16_sdwa v28, sext(v28) dst_sel:DWORD dst_unused:UNUSED_PAD src0_sel:BYTE_0
	v_cvt_f16_i16_sdwa v29, sext(v29) dst_sel:DWORD dst_unused:UNUSED_PAD src0_sel:BYTE_0
	v_pack_b32_f16 v28, v28, v29
	v_lshrrev_b32_e32 v29, 16, v27
	v_cvt_f16_i16_sdwa v27, sext(v27) dst_sel:DWORD dst_unused:UNUSED_PAD src0_sel:BYTE_0
	v_pk_mul_f16 v28, v28, v26
	v_cvt_f16_i16_sdwa v29, sext(v29) dst_sel:DWORD dst_unused:UNUSED_PAD src0_sel:BYTE_0
	v_pk_fma_f16 v32, v28, v34, v32
	v_pack_b32_f16 v27, v27, v29
	v_pk_fma_f16 v33, v28, v35, v33
	v_pk_mul_f16 v26, v27, v26
	v_pk_fma_f16 v30, v26, v34, v30
	v_pk_fma_f16 v31, v26, v35, v31
	v_add_co_u32 v26, vcc_lo, v131, s28
	v_add_co_ci_u32_e64 v27, null, 0, v132, vcc_lo
	v_add_co_u32 v28, vcc_lo, v129, s28
	v_add_co_ci_u32_e64 v29, null, 0, v130, vcc_lo
	global_load_ushort v26, v[26:27], off
	global_load_dword v27, v[28:29], off offset:2
	s_waitcnt vmcnt(1)
	v_mul_u32_u24_e32 v26, 0x10001, v26
	s_waitcnt vmcnt(0)
	v_pk_lshrrev_b16 v28, 8, v27 op_sel:[1,0] op_sel_hi:[0,0]
	v_pk_lshrrev_b16 v27, 8, v27 op_sel:[1,1] op_sel_hi:[0,1]
	v_lshrrev_b32_e32 v29, 16, v28
	v_cvt_f16_i16_sdwa v28, sext(v28) dst_sel:DWORD dst_unused:UNUSED_PAD src0_sel:BYTE_0
	v_cvt_f16_i16_sdwa v29, sext(v29) dst_sel:DWORD dst_unused:UNUSED_PAD src0_sel:BYTE_0
	v_pack_b32_f16 v28, v28, v29
	v_lshrrev_b32_e32 v29, 16, v27
	v_cvt_f16_i16_sdwa v27, sext(v27) dst_sel:DWORD dst_unused:UNUSED_PAD src0_sel:BYTE_0
	v_pk_mul_f16 v28, v28, v26
	v_cvt_f16_i16_sdwa v29, sext(v29) dst_sel:DWORD dst_unused:UNUSED_PAD src0_sel:BYTE_0
	v_pk_fma_f16 v32, v28, v18, v32
	v_pack_b32_f16 v27, v27, v29
	v_pk_fma_f16 v33, v28, v22, v33
	v_pk_mul_f16 v26, v27, v26
	v_pk_fma_f16 v18, v26, v18, v30
	v_pk_fma_f16 v22, v26, v22, v31
	v_add_co_u32 v26, vcc_lo, v127, s28
	v_add_co_ci_u32_e64 v27, null, 0, v128, vcc_lo
	v_add_co_u32 v28, vcc_lo, v125, s28
	v_add_co_ci_u32_e64 v29, null, 0, v126, vcc_lo
	global_load_ushort v26, v[26:27], off
	v_mul_u32_u24_sdwa v30, v19, v229 dst_sel:DWORD dst_unused:UNUSED_PAD src0_sel:WORD_0 src1_sel:DWORD
	v_mul_u32_u24_sdwa v31, v23, v229 dst_sel:DWORD dst_unused:UNUSED_PAD src0_sel:WORD_0 src1_sel:DWORD
	global_load_dword v27, v[28:29], off offset:2
	s_waitcnt vmcnt(1)
	v_mul_u32_u24_e32 v26, 0x10001, v26
	s_waitcnt vmcnt(0)
	v_pk_lshrrev_b16 v28, 8, v27 op_sel:[1,0] op_sel_hi:[0,0]
	v_pk_lshrrev_b16 v27, 8, v27 op_sel:[1,1] op_sel_hi:[0,1]
	v_lshrrev_b32_e32 v29, 16, v28
	v_cvt_f16_i16_sdwa v28, sext(v28) dst_sel:DWORD dst_unused:UNUSED_PAD src0_sel:BYTE_0
	v_cvt_f16_i16_sdwa v29, sext(v29) dst_sel:DWORD dst_unused:UNUSED_PAD src0_sel:BYTE_0
	v_pack_b32_f16 v28, v28, v29
	v_lshrrev_b32_e32 v29, 16, v27
	v_cvt_f16_i16_sdwa v27, sext(v27) dst_sel:DWORD dst_unused:UNUSED_PAD src0_sel:BYTE_0
	v_pk_mul_f16 v28, v28, v26
	v_cvt_f16_i16_sdwa v29, sext(v29) dst_sel:DWORD dst_unused:UNUSED_PAD src0_sel:BYTE_0
	v_pack_b32_f16 v27, v27, v29
	v_pk_mul_f16 v26, v27, v26
	v_pk_fma_f16 v27, v28, v30, v32
	v_pk_fma_f16 v28, v28, v31, v33
	;; [unrolled: 1-line block ×3, first 2 shown]
	v_add_co_u32 v18, vcc_lo, v123, s28
	v_pk_fma_f16 v26, v26, v31, v22
	v_mul_u32_u24_sdwa v30, v19, v229 dst_sel:DWORD dst_unused:UNUSED_PAD src0_sel:WORD_1 src1_sel:DWORD
	v_add_co_ci_u32_e64 v19, null, 0, v124, vcc_lo
	v_add_co_u32 v22, vcc_lo, v121, s28
	v_mul_u32_u24_sdwa v31, v23, v229 dst_sel:DWORD dst_unused:UNUSED_PAD src0_sel:WORD_1 src1_sel:DWORD
	v_add_co_ci_u32_e64 v23, null, 0, v122, vcc_lo
	global_load_ushort v18, v[18:19], off
	global_load_dword v19, v[22:23], off offset:2
	s_waitcnt vmcnt(1)
	v_mul_u32_u24_e32 v18, 0x10001, v18
	s_waitcnt vmcnt(0)
	v_pk_lshrrev_b16 v22, 8, v19 op_sel:[1,0] op_sel_hi:[0,0]
	v_pk_lshrrev_b16 v19, 8, v19 op_sel:[1,1] op_sel_hi:[0,1]
	v_lshrrev_b32_e32 v23, 16, v22
	v_cvt_f16_i16_sdwa v22, sext(v22) dst_sel:DWORD dst_unused:UNUSED_PAD src0_sel:BYTE_0
	v_cvt_f16_i16_sdwa v23, sext(v23) dst_sel:DWORD dst_unused:UNUSED_PAD src0_sel:BYTE_0
	v_pack_b32_f16 v22, v22, v23
	v_lshrrev_b32_e32 v23, 16, v19
	v_cvt_f16_i16_sdwa v19, sext(v19) dst_sel:DWORD dst_unused:UNUSED_PAD src0_sel:BYTE_0
	v_pk_mul_f16 v22, v22, v18
	v_cvt_f16_i16_sdwa v23, sext(v23) dst_sel:DWORD dst_unused:UNUSED_PAD src0_sel:BYTE_0
	v_pk_fma_f16 v27, v22, v30, v27
	v_pack_b32_f16 v19, v19, v23
	v_pk_fma_f16 v28, v22, v31, v28
	v_pk_mul_f16 v18, v19, v18
	v_pk_fma_f16 v29, v18, v30, v29
	v_pk_fma_f16 v26, v18, v31, v26
	v_add_co_u32 v18, vcc_lo, v119, s28
	v_add_co_ci_u32_e64 v19, null, 0, v120, vcc_lo
	v_add_co_u32 v22, vcc_lo, v117, s28
	v_add_co_ci_u32_e64 v23, null, 0, v118, vcc_lo
	global_load_ushort v18, v[18:19], off
	v_mul_u32_u24_sdwa v30, v20, v229 dst_sel:DWORD dst_unused:UNUSED_PAD src0_sel:WORD_0 src1_sel:DWORD
	v_mul_u32_u24_sdwa v31, v24, v229 dst_sel:DWORD dst_unused:UNUSED_PAD src0_sel:WORD_0 src1_sel:DWORD
	global_load_dword v19, v[22:23], off offset:2
	v_mul_u32_u24_sdwa v20, v20, v229 dst_sel:DWORD dst_unused:UNUSED_PAD src0_sel:WORD_1 src1_sel:DWORD
	v_mul_u32_u24_sdwa v24, v24, v229 dst_sel:DWORD dst_unused:UNUSED_PAD src0_sel:WORD_1 src1_sel:DWORD
	s_waitcnt vmcnt(1)
	v_mul_u32_u24_e32 v18, 0x10001, v18
	s_waitcnt vmcnt(0)
	v_pk_lshrrev_b16 v22, 8, v19 op_sel:[1,0] op_sel_hi:[0,0]
	v_pk_lshrrev_b16 v19, 8, v19 op_sel:[1,1] op_sel_hi:[0,1]
	v_lshrrev_b32_e32 v23, 16, v22
	v_cvt_f16_i16_sdwa v22, sext(v22) dst_sel:DWORD dst_unused:UNUSED_PAD src0_sel:BYTE_0
	v_cvt_f16_i16_sdwa v23, sext(v23) dst_sel:DWORD dst_unused:UNUSED_PAD src0_sel:BYTE_0
	v_pack_b32_f16 v22, v22, v23
	v_lshrrev_b32_e32 v23, 16, v19
	v_cvt_f16_i16_sdwa v19, sext(v19) dst_sel:DWORD dst_unused:UNUSED_PAD src0_sel:BYTE_0
	v_pk_mul_f16 v22, v22, v18
	v_cvt_f16_i16_sdwa v23, sext(v23) dst_sel:DWORD dst_unused:UNUSED_PAD src0_sel:BYTE_0
	v_pk_fma_f16 v27, v22, v30, v27
	v_pack_b32_f16 v19, v19, v23
	v_pk_fma_f16 v28, v22, v31, v28
	v_pk_mul_f16 v18, v19, v18
	v_pk_fma_f16 v29, v18, v30, v29
	v_pk_fma_f16 v26, v18, v31, v26
	v_add_co_u32 v18, vcc_lo, v115, s28
	v_add_co_ci_u32_e64 v19, null, 0, v116, vcc_lo
	v_add_co_u32 v22, vcc_lo, v113, s28
	v_add_co_ci_u32_e64 v23, null, 0, v114, vcc_lo
	global_load_ushort v18, v[18:19], off
	v_mul_u32_u24_sdwa v30, v21, v229 dst_sel:DWORD dst_unused:UNUSED_PAD src0_sel:WORD_0 src1_sel:DWORD
	v_mul_u32_u24_sdwa v31, v25, v229 dst_sel:DWORD dst_unused:UNUSED_PAD src0_sel:WORD_0 src1_sel:DWORD
	global_load_dword v19, v[22:23], off offset:2
	v_mul_u32_u24_sdwa v21, v21, v229 dst_sel:DWORD dst_unused:UNUSED_PAD src0_sel:WORD_1 src1_sel:DWORD
	v_mul_u32_u24_sdwa v25, v25, v229 dst_sel:DWORD dst_unused:UNUSED_PAD src0_sel:WORD_1 src1_sel:DWORD
	s_waitcnt vmcnt(1)
	v_mul_u32_u24_e32 v18, 0x10001, v18
	s_waitcnt vmcnt(0)
	v_pk_lshrrev_b16 v22, 8, v19 op_sel:[1,0] op_sel_hi:[0,0]
	v_pk_lshrrev_b16 v19, 8, v19 op_sel:[1,1] op_sel_hi:[0,1]
	v_lshrrev_b32_e32 v23, 16, v22
	v_cvt_f16_i16_sdwa v22, sext(v22) dst_sel:DWORD dst_unused:UNUSED_PAD src0_sel:BYTE_0
	v_cvt_f16_i16_sdwa v23, sext(v23) dst_sel:DWORD dst_unused:UNUSED_PAD src0_sel:BYTE_0
	v_pack_b32_f16 v22, v22, v23
	v_lshrrev_b32_e32 v23, 16, v19
	v_cvt_f16_i16_sdwa v19, sext(v19) dst_sel:DWORD dst_unused:UNUSED_PAD src0_sel:BYTE_0
	v_pk_mul_f16 v22, v22, v18
	v_cvt_f16_i16_sdwa v23, sext(v23) dst_sel:DWORD dst_unused:UNUSED_PAD src0_sel:BYTE_0
	v_pk_fma_f16 v27, v22, v20, v27
	v_pack_b32_f16 v19, v19, v23
	v_pk_fma_f16 v28, v22, v24, v28
	v_pk_mul_f16 v18, v19, v18
	v_pk_fma_f16 v29, v18, v20, v29
	v_pk_fma_f16 v26, v18, v24, v26
	v_add_co_u32 v18, vcc_lo, v111, s28
	v_add_co_ci_u32_e64 v19, null, 0, v112, vcc_lo
	v_add_co_u32 v22, vcc_lo, v109, s28
	v_add_co_ci_u32_e64 v23, null, 0, v110, vcc_lo
	global_load_ushort v18, v[18:19], off
	global_load_dword v19, v[22:23], off offset:2
	s_waitcnt vmcnt(1)
	v_mul_u32_u24_e32 v18, 0x10001, v18
	s_waitcnt vmcnt(0)
	v_pk_lshrrev_b16 v20, 8, v19 op_sel:[1,0] op_sel_hi:[0,0]
	v_pk_lshrrev_b16 v19, 8, v19 op_sel:[1,1] op_sel_hi:[0,1]
	v_lshrrev_b32_e32 v22, 16, v20
	v_cvt_f16_i16_sdwa v20, sext(v20) dst_sel:DWORD dst_unused:UNUSED_PAD src0_sel:BYTE_0
	v_cvt_f16_i16_sdwa v22, sext(v22) dst_sel:DWORD dst_unused:UNUSED_PAD src0_sel:BYTE_0
	v_pack_b32_f16 v20, v20, v22
	v_pk_mul_f16 v22, v20, v18
	v_lshrrev_b32_e32 v20, 16, v19
	v_cvt_f16_i16_sdwa v19, sext(v19) dst_sel:DWORD dst_unused:UNUSED_PAD src0_sel:BYTE_0
	v_pk_fma_f16 v24, v22, v31, v28
	v_cvt_f16_i16_sdwa v20, sext(v20) dst_sel:DWORD dst_unused:UNUSED_PAD src0_sel:BYTE_0
	v_pack_b32_f16 v19, v19, v20
	v_pk_fma_f16 v20, v22, v30, v27
	v_pk_mul_f16 v18, v19, v18
	v_pk_fma_f16 v22, v18, v30, v29
	v_pk_fma_f16 v23, v18, v31, v26
	v_add_co_u32 v18, vcc_lo, v107, s28
	v_add_co_ci_u32_e64 v19, null, 0, v108, vcc_lo
	v_add_co_u32 v26, vcc_lo, v105, s28
	v_add_co_ci_u32_e64 v27, null, 0, v106, vcc_lo
	global_load_ushort v18, v[18:19], off
	v_add_co_u32 v89, vcc_lo, v89, s3
	global_load_dword v19, v[26:27], off offset:2
	v_add_co_ci_u32_e64 v90, null, 0, v90, vcc_lo
	v_add_co_u32 v79, vcc_lo, v79, s8
	v_add_co_ci_u32_e64 v80, null, s9, v80, vcc_lo
	v_add_co_u32 v91, vcc_lo, v91, s8
	v_add_co_ci_u32_e64 v92, null, s9, v92, vcc_lo
	v_add_co_u32 v93, vcc_lo, v93, s3
	v_add_co_ci_u32_e64 v94, null, 0, v94, vcc_lo
	v_add_co_u32 v95, vcc_lo, v95, s3
	v_add_co_ci_u32_e64 v96, null, 0, v96, vcc_lo
	v_add_co_u32 v97, vcc_lo, v97, s8
	v_add_co_ci_u32_e64 v98, null, s9, v98, vcc_lo
	v_add_co_u32 v99, vcc_lo, v99, s5
	v_add_co_ci_u32_e64 v100, null, 0, v100, vcc_lo
	v_add_co_u32 v101, vcc_lo, v101, s5
	v_add_co_ci_u32_e64 v102, null, 0, v102, vcc_lo
	v_add_co_u32 v103, vcc_lo, v103, s3
	v_add_co_ci_u32_e64 v104, null, 0, v104, vcc_lo
	v_add_co_u32 v105, vcc_lo, v105, s5
	v_add_co_ci_u32_e64 v106, null, 0, v106, vcc_lo
	v_add_co_u32 v107, vcc_lo, v107, s5
	v_add_co_ci_u32_e64 v108, null, 0, v108, vcc_lo
	v_add_co_u32 v109, vcc_lo, v109, s5
	v_add_co_ci_u32_e64 v110, null, 0, v110, vcc_lo
	v_add_co_u32 v111, vcc_lo, v111, s5
	v_add_co_ci_u32_e64 v112, null, 0, v112, vcc_lo
	v_add_co_u32 v113, vcc_lo, v113, s5
	v_add_co_ci_u32_e64 v114, null, 0, v114, vcc_lo
	v_add_co_u32 v115, vcc_lo, v115, s5
	v_add_co_ci_u32_e64 v116, null, 0, v116, vcc_lo
	v_add_co_u32 v117, vcc_lo, v117, s5
	v_add_co_ci_u32_e64 v118, null, 0, v118, vcc_lo
	v_add_co_u32 v119, vcc_lo, v119, s5
	v_add_co_ci_u32_e64 v120, null, 0, v120, vcc_lo
	v_add_co_u32 v121, vcc_lo, v121, s5
	v_add_co_ci_u32_e64 v122, null, 0, v122, vcc_lo
	v_add_co_u32 v123, vcc_lo, v123, s5
	v_add_co_ci_u32_e64 v124, null, 0, v124, vcc_lo
	v_add_co_u32 v125, vcc_lo, v125, s5
	v_add_co_ci_u32_e64 v126, null, 0, v126, vcc_lo
	v_add_co_u32 v127, vcc_lo, v127, s5
	v_add_co_ci_u32_e64 v128, null, 0, v128, vcc_lo
	v_add_co_u32 v129, vcc_lo, v129, s5
	v_add_co_ci_u32_e64 v130, null, 0, v130, vcc_lo
	v_add_co_u32 v131, vcc_lo, v131, s5
	v_add_co_ci_u32_e64 v132, null, 0, v132, vcc_lo
	v_add_co_u32 v133, vcc_lo, v133, s5
	v_add_co_ci_u32_e64 v134, null, 0, v134, vcc_lo
	v_add_co_u32 v135, vcc_lo, v135, s5
	v_add_co_ci_u32_e64 v136, null, 0, v136, vcc_lo
	v_add_co_u32 v137, vcc_lo, v137, s5
	v_add_co_ci_u32_e64 v138, null, 0, v138, vcc_lo
	v_add_co_u32 v139, vcc_lo, v139, s5
	v_add_co_ci_u32_e64 v140, null, 0, v140, vcc_lo
	v_add_co_u32 v141, vcc_lo, v141, s5
	v_add_co_ci_u32_e64 v142, null, 0, v142, vcc_lo
	v_add_co_u32 v143, vcc_lo, v143, s5
	v_add_co_ci_u32_e64 v144, null, 0, v144, vcc_lo
	v_add_co_u32 v145, vcc_lo, v145, s5
	v_add_co_ci_u32_e64 v146, null, 0, v146, vcc_lo
	v_add_co_u32 v147, vcc_lo, v147, s5
	v_add_co_ci_u32_e64 v148, null, 0, v148, vcc_lo
	v_add_co_u32 v149, vcc_lo, v149, s5
	v_add_co_ci_u32_e64 v150, null, 0, v150, vcc_lo
	v_add_co_u32 v151, vcc_lo, v151, s5
	v_add_co_ci_u32_e64 v152, null, 0, v152, vcc_lo
	v_add_co_u32 v153, vcc_lo, v153, s5
	v_add_co_ci_u32_e64 v154, null, 0, v154, vcc_lo
	v_add_co_u32 v155, vcc_lo, v155, s5
	v_add_co_ci_u32_e64 v156, null, 0, v156, vcc_lo
	v_add_co_u32 v157, vcc_lo, v157, s5
	v_add_co_ci_u32_e64 v158, null, 0, v158, vcc_lo
	v_add_co_u32 v159, vcc_lo, v159, s5
	v_add_co_ci_u32_e64 v160, null, 0, v160, vcc_lo
	v_add_co_u32 v161, vcc_lo, v161, s5
	v_add_co_ci_u32_e64 v162, null, 0, v162, vcc_lo
	v_add_co_u32 v163, vcc_lo, v163, s5
	v_add_co_ci_u32_e64 v164, null, 0, v164, vcc_lo
	v_add_co_u32 v165, vcc_lo, v165, s5
	v_add_co_ci_u32_e64 v166, null, 0, v166, vcc_lo
	v_add_co_u32 v167, vcc_lo, v167, s5
	v_add_co_ci_u32_e64 v168, null, 0, v168, vcc_lo
	v_add_co_u32 v169, vcc_lo, v169, s5
	v_add_co_ci_u32_e64 v170, null, 0, v170, vcc_lo
	v_add_co_u32 v171, vcc_lo, v171, s5
	v_add_co_ci_u32_e64 v172, null, 0, v172, vcc_lo
	v_add_co_u32 v173, vcc_lo, v173, s5
	v_add_co_ci_u32_e64 v174, null, 0, v174, vcc_lo
	v_add_co_u32 v175, vcc_lo, v175, s5
	v_add_co_ci_u32_e64 v176, null, 0, v176, vcc_lo
	v_add_co_u32 v177, vcc_lo, v177, s5
	v_add_co_ci_u32_e64 v178, null, 0, v178, vcc_lo
	v_add_co_u32 v179, vcc_lo, v179, s5
	v_add_co_ci_u32_e64 v180, null, 0, v180, vcc_lo
	v_add_co_u32 v181, vcc_lo, v181, s5
	v_add_co_ci_u32_e64 v182, null, 0, v182, vcc_lo
	v_add_co_u32 v183, vcc_lo, v183, s5
	v_add_co_ci_u32_e64 v184, null, 0, v184, vcc_lo
	v_add_co_u32 v185, vcc_lo, v185, s5
	v_add_co_ci_u32_e64 v186, null, 0, v186, vcc_lo
	v_add_co_u32 v187, vcc_lo, v187, s5
	v_add_co_ci_u32_e64 v188, null, 0, v188, vcc_lo
	v_add_co_u32 v189, vcc_lo, v189, s5
	v_add_co_ci_u32_e64 v190, null, 0, v190, vcc_lo
	v_add_co_u32 v191, vcc_lo, v191, s5
	v_add_co_ci_u32_e64 v192, null, 0, v192, vcc_lo
	v_add_co_u32 v193, vcc_lo, v193, s5
	v_add_co_ci_u32_e64 v194, null, 0, v194, vcc_lo
	v_add_co_u32 v195, vcc_lo, v195, s5
	v_add_co_ci_u32_e64 v196, null, 0, v196, vcc_lo
	v_add_co_u32 v197, vcc_lo, v197, s5
	v_add_co_ci_u32_e64 v198, null, 0, v198, vcc_lo
	v_add_co_u32 v199, vcc_lo, v199, s5
	v_add_co_ci_u32_e64 v200, null, 0, v200, vcc_lo
	v_add_co_u32 v201, vcc_lo, v201, s5
	v_add_co_ci_u32_e64 v202, null, 0, v202, vcc_lo
	v_add_co_u32 v203, vcc_lo, v203, s5
	v_add_co_ci_u32_e64 v204, null, 0, v204, vcc_lo
	v_add_co_u32 v205, vcc_lo, v205, s5
	v_add_co_ci_u32_e64 v206, null, 0, v206, vcc_lo
	v_add_co_u32 v207, vcc_lo, v207, s5
	v_add_co_ci_u32_e64 v208, null, 0, v208, vcc_lo
	v_add_co_u32 v209, vcc_lo, v209, s5
	v_add_co_ci_u32_e64 v210, null, 0, v210, vcc_lo
	v_add_co_u32 v211, vcc_lo, v211, s5
	v_add_co_ci_u32_e64 v212, null, 0, v212, vcc_lo
	v_add_co_u32 v213, vcc_lo, v213, s5
	v_add_co_ci_u32_e64 v214, null, 0, v214, vcc_lo
	v_add_co_u32 v215, vcc_lo, v215, s5
	v_add_co_ci_u32_e64 v216, null, 0, v216, vcc_lo
	v_add_co_u32 v217, vcc_lo, v217, s5
	v_add_co_ci_u32_e64 v218, null, 0, v218, vcc_lo
	v_add_co_u32 v219, vcc_lo, v219, s5
	v_add_co_ci_u32_e64 v220, null, 0, v220, vcc_lo
	v_add_co_u32 v221, vcc_lo, v221, s5
	v_add_co_ci_u32_e64 v222, null, 0, v222, vcc_lo
	v_add_co_u32 v223, vcc_lo, v223, s5
	v_add_co_ci_u32_e64 v224, null, 0, v224, vcc_lo
	v_add_co_u32 v225, vcc_lo, v225, s5
	v_add_co_ci_u32_e64 v226, null, 0, v226, vcc_lo
	v_add_co_u32 v227, vcc_lo, v227, s5
	v_add_co_ci_u32_e64 v228, null, 0, v228, vcc_lo
	s_waitcnt vmcnt(1)
	v_mul_u32_u24_e32 v18, 0x10001, v18
	s_waitcnt vmcnt(0)
	v_pk_lshrrev_b16 v26, 8, v19 op_sel:[1,0] op_sel_hi:[0,0]
	v_pk_lshrrev_b16 v19, 8, v19 op_sel:[1,1] op_sel_hi:[0,1]
	v_lshrrev_b32_e32 v27, 16, v26
	v_cvt_f16_i16_sdwa v26, sext(v26) dst_sel:DWORD dst_unused:UNUSED_PAD src0_sel:BYTE_0
	v_cvt_f16_i16_sdwa v27, sext(v27) dst_sel:DWORD dst_unused:UNUSED_PAD src0_sel:BYTE_0
	v_pack_b32_f16 v26, v26, v27
	v_lshrrev_b32_e32 v27, 16, v19
	v_cvt_f16_i16_sdwa v19, sext(v19) dst_sel:DWORD dst_unused:UNUSED_PAD src0_sel:BYTE_0
	v_pk_mul_f16 v26, v26, v18
	v_cvt_f16_i16_sdwa v27, sext(v27) dst_sel:DWORD dst_unused:UNUSED_PAD src0_sel:BYTE_0
	v_pack_b32_f16 v19, v19, v27
	v_pk_mul_f16 v27, v19, v18
	v_pk_fma_f16 v18, v26, v21, v20
	v_pk_fma_f16 v20, v26, v25, v24
	;; [unrolled: 1-line block ×4, first 2 shown]
	s_cbranch_scc1 .LBB22_44
; %bb.42:                               ;   in Loop: Header=BB22_17 Depth=1
	v_mov_b32_e32 v23, v70
	v_mov_b32_e32 v22, v71
	s_branch .LBB22_17
.LBB22_43:
	v_mov_b32_e32 v70, 0xfeffffff
	v_mov_b32_e32 v82, 0
	;; [unrolled: 1-line block ×4, first 2 shown]
	s_branch .LBB22_45
.LBB22_44:
	ds_write_b128 v76, v[18:21]
.LBB22_45:
	s_cmp_eq_u64 s[20:21], 0
	s_cselect_b32 s1, -1, 0
	s_cmp_lg_u32 s34, 0
	s_cselect_b32 s2, -1, 0
	s_or_b32 s1, s2, s1
	s_nor_b32 s0, s1, s0
	s_and_saveexec_b32 s1, s0
	s_cbranch_execz .LBB22_47
; %bb.46:
	s_ashr_i32 s39, s38, 31
	v_cmp_eq_u32_e32 vcc_lo, 1, v1
	s_lshl_b64 s[2:3], s[38:39], 2
	s_add_u32 s2, s20, s2
	s_addc_u32 s3, s21, s3
	v_cndmask_b32_e32 v2, v70, v71, vcc_lo
	s_load_dword s0, s[2:3], 0x0
	v_max_f32_e32 v3, v2, v2
	s_waitcnt lgkmcnt(0)
	v_max_f32_e64 v4, s0, s0
	v_max_f32_e32 v4, v4, v3
	v_sub_f32_e32 v5, s0, v4
	v_sub_f32_e32 v6, v2, v4
	v_cndmask_b32_e32 v71, v71, v4, vcc_lo
	v_mul_f32_e32 v2, 0x3fb8aa3b, v5
	v_mul_f32_e32 v3, 0x3fb8aa3b, v6
	v_cmp_ngt_f32_e64 s0, 0xc2ce8ed0, v5
	v_fma_f32 v7, 0x3fb8aa3b, v5, -v2
	v_rndne_f32_e32 v8, v2
	v_fma_f32 v9, 0x3fb8aa3b, v6, -v3
	v_rndne_f32_e32 v10, v3
	v_fmac_f32_e32 v7, 0x32a5705f, v5
	v_sub_f32_e32 v2, v2, v8
	v_fmac_f32_e32 v9, 0x32a5705f, v6
	v_sub_f32_e32 v3, v3, v10
	v_add_f32_e32 v2, v2, v7
	v_cvt_i32_f32_e32 v7, v8
	v_add_f32_e32 v3, v3, v9
	v_cvt_i32_f32_e32 v8, v10
	v_lshl_add_u32 v9, v1, 3, v76
	v_exp_f32_e32 v2, v2
	v_exp_f32_e32 v3, v3
	v_ldexp_f32 v7, v2, v7
	v_ldexp_f32 v8, v3, v8
	ds_read_b64 v[2:3], v9
	v_cndmask_b32_e64 v7, 0, v7, s0
	v_cmp_ngt_f32_e64 s0, 0xc2ce8ed0, v6
	v_cndmask_b32_e64 v8, 0, v8, s0
	v_cmp_nlt_f32_e64 s0, 0x42b17218, v5
	v_cndmask_b32_e64 v5, 0x7f800000, v7, s0
	v_cmp_nlt_f32_e64 s0, 0x42b17218, v6
	v_mov_b32_e32 v7, 0x10001
	v_cndmask_b32_e64 v6, 0x7f800000, v8, s0
	v_cmp_eq_u32_e64 s0, 0, v0
	v_cndmask_b32_e32 v8, v82, v81, vcc_lo
	v_cvt_f16_f32_e32 v10, v6
	v_cndmask_b32_e64 v5, 0, v5, s0
	v_cmp_eq_u32_e64 s0, 0, v1
	v_fmac_f32_e32 v5, v8, v6
	v_mul_u32_u24_sdwa v6, v10, v7 dst_sel:DWORD dst_unused:UNUSED_PAD src0_sel:WORD_0 src1_sel:DWORD
	v_cndmask_b32_e64 v70, v70, v4, s0
	v_cndmask_b32_e32 v81, v81, v5, vcc_lo
	s_waitcnt lgkmcnt(0)
	v_pk_mul_f16 v2, v2, v6
	v_pk_mul_f16 v3, v3, v6
	v_cndmask_b32_e64 v82, v82, v5, s0
	ds_write_b64 v9, v[2:3]
.LBB22_47:
	s_or_b32 exec_lo, exec_lo, s1
	v_add_nc_u32_e32 v4, 0x500, v74
	v_or_b32_e32 v10, 0x400, v74
	s_mov_b32 s0, exec_lo
	v_cmpx_eq_u32_e32 0, v1
	s_cbranch_execz .LBB22_49
; %bb.48:
	v_mov_b32_e32 v2, 0xfeffffff
	v_mov_b32_e32 v3, 0
	ds_write2_b32 v10, v2, v2 offset1:32
	ds_write2_b32 v4, v3, v3 offset1:32
.LBB22_49:
	s_or_b32 exec_lo, exec_lo, s0
	v_cmp_eq_u32_e64 s0, 0, v0
	s_waitcnt lgkmcnt(0)
	s_barrier
	buffer_gl0_inv
	s_and_saveexec_b32 s1, s0
; %bb.50:
	v_lshlrev_b32_e32 v2, 2, v1
	v_add_nc_u32_e32 v2, 0x400, v2
	ds_write2_b32 v2, v70, v71 offset1:32
; %bb.51:
	s_or_b32 exec_lo, exec_lo, s1
	s_cmp_lt_i32 s30, s36
	s_waitcnt lgkmcnt(0)
	s_barrier
	buffer_gl0_inv
	s_cbranch_scc1 .LBB22_53
; %bb.52:
	s_load_dword s2, s[6:7], 0xd4
	s_cbranch_execz .LBB22_54
	s_branch .LBB22_61
.LBB22_53:
                                        ; implicit-def: $sgpr2
.LBB22_54:
	ds_read_b32 v2, v10
	v_xor_b32_e32 v3, 16, v78
	v_xor_b32_e32 v6, 8, v78
	;; [unrolled: 1-line block ×5, first 2 shown]
	v_cmp_gt_i32_e32 vcc_lo, 32, v3
	s_waitcnt lgkmcnt(0)
	s_load_dword s2, s[6:7], 0xd4
	v_mov_b32_e32 v15, 0x10001
	v_lshl_add_u32 v1, v1, 2, 0x500
	v_cndmask_b32_e32 v3, v78, v3, vcc_lo
	v_cmp_gt_i32_e32 vcc_lo, 32, v6
	v_lshlrev_b32_e32 v5, 2, v3
	v_cndmask_b32_e32 v6, v78, v6, vcc_lo
	v_cmp_gt_i32_e32 vcc_lo, 32, v7
	ds_bpermute_b32 v3, v5, v2
	v_max_f32_e32 v2, v2, v2
	v_lshlrev_b32_e32 v6, 2, v6
	v_cndmask_b32_e32 v7, v78, v7, vcc_lo
	v_cmp_gt_i32_e32 vcc_lo, 32, v8
	v_lshlrev_b32_e32 v7, 2, v7
	v_cndmask_b32_e32 v8, v78, v8, vcc_lo
	v_cmp_gt_i32_e32 vcc_lo, 32, v9
	v_lshlrev_b32_e32 v8, 2, v8
	v_cndmask_b32_e32 v9, v78, v9, vcc_lo
	v_lshlrev_b32_e32 v9, 2, v9
	s_waitcnt lgkmcnt(0)
	v_max_f32_e32 v3, v3, v3
	v_max_f32_e32 v2, v2, v3
	ds_bpermute_b32 v3, v6, v2
	s_waitcnt lgkmcnt(0)
	v_max_f32_e32 v3, v3, v3
	v_max_f32_e32 v2, v2, v3
	ds_bpermute_b32 v3, v7, v2
	;; [unrolled: 4-line block ×4, first 2 shown]
	s_waitcnt lgkmcnt(0)
	v_max_f32_e32 v3, v3, v3
	v_max_f32_e32 v2, v2, v3
	v_sub_f32_e32 v3, v70, v2
	v_mul_f32_e32 v11, 0x3fb8aa3b, v3
	v_cmp_ngt_f32_e32 vcc_lo, 0xc2ce8ed0, v3
	v_fma_f32 v12, 0x3fb8aa3b, v3, -v11
	v_rndne_f32_e32 v13, v11
	v_fmamk_f32 v12, v3, 0x32a5705f, v12
	v_sub_f32_e32 v11, v11, v13
	v_add_f32_e32 v11, v11, v12
	v_cvt_i32_f32_e32 v12, v13
	ds_read_b64 v[13:14], v76
	v_exp_f32_e32 v11, v11
	v_ldexp_f32 v11, v11, v12
	v_cndmask_b32_e32 v11, 0, v11, vcc_lo
	v_cmp_nlt_f32_e32 vcc_lo, 0x42b17218, v3
	v_cndmask_b32_e32 v11, 0x7f800000, v11, vcc_lo
	v_mul_f32_e32 v3, v82, v11
	ds_bpermute_b32 v3, v5, v3
	s_waitcnt lgkmcnt(0)
	v_fmac_f32_e32 v3, v82, v11
	v_cvt_f16_f32_e32 v11, v11
	ds_bpermute_b32 v12, v6, v3
	v_mul_u32_u24_sdwa v11, v11, v15 dst_sel:DWORD dst_unused:UNUSED_PAD src0_sel:WORD_0 src1_sel:DWORD
	v_lshlrev_b32_e32 v15, 3, v0
	v_pk_mul_f16 v13, v13, v11
	v_pk_mul_f16 v14, v14, v11
	v_add_nc_u32_e32 v11, v72, v15
	ds_write_b64 v76, v[13:14]
	ds_write_b64 v11, v[13:14]
	s_waitcnt lgkmcnt(2)
	v_add_f32_e32 v3, v3, v12
	ds_bpermute_b32 v12, v7, v3
	s_waitcnt lgkmcnt(0)
	v_add_f32_e32 v3, v3, v12
	ds_bpermute_b32 v12, v8, v3
	;; [unrolled: 3-line block ×3, first 2 shown]
	s_and_saveexec_b32 s1, s0
	s_cbranch_execz .LBB22_56
; %bb.55:
	s_waitcnt lgkmcnt(0)
	v_add_f32_e32 v3, v3, v12
	ds_write_b32 v1, v3
.LBB22_56:
	s_or_b32 exec_lo, exec_lo, s1
	s_waitcnt lgkmcnt(0)
	s_barrier
	buffer_gl0_inv
	ds_read_b32 v3, v4
	ds_read_u16 v12, v75
	ds_read_u16 v13, v75 offset:256
	ds_read_u16 v14, v75 offset:512
	ds_read_u16 v15, v75 offset:768
	s_cmp_eq_u32 s2, 1
	s_mul_i32 s3, s33, s36
	s_cselect_b32 s1, -1, 0
	s_add_i32 s3, s30, s3
	s_mul_i32 s3, s3, s37
	s_add_i32 s3, s3, s38
	s_mul_i32 s4, s2, s3
	s_add_i32 s4, s4, s34
	s_waitcnt lgkmcnt(4)
	ds_bpermute_b32 v16, v5, v3
	s_waitcnt lgkmcnt(4)
	v_cvt_f32_f16_e32 v12, v12
	s_waitcnt lgkmcnt(3)
	v_cvt_f32_f16_e32 v13, v13
	;; [unrolled: 2-line block ×3, first 2 shown]
	v_add_f32_e32 v12, 0, v12
	v_add_f32_e32 v12, v12, v13
	s_waitcnt lgkmcnt(1)
	v_cvt_f32_f16_e32 v13, v15
	v_add_f32_e32 v12, v12, v14
	s_waitcnt lgkmcnt(0)
	v_add_f32_e32 v3, v3, v16
	v_add_f32_e32 v14, v12, v13
	ds_bpermute_b32 v16, v6, v3
	s_waitcnt lgkmcnt(0)
	v_add_f32_e32 v3, v3, v16
	ds_bpermute_b32 v16, v7, v3
	s_waitcnt lgkmcnt(0)
	;; [unrolled: 3-line block ×4, first 2 shown]
	v_add_f32_e32 v82, v3, v16
	v_div_scale_f32 v3, null, v82, v82, v14
	v_div_scale_f32 v15, vcc_lo, v14, v82, v14
	v_rcp_f32_e32 v12, v3
	v_fma_f32 v13, -v3, v12, 1.0
	v_fmac_f32_e32 v12, v13, v12
	v_mul_f32_e32 v13, v15, v12
	v_fma_f32 v16, -v3, v13, v15
	v_fmac_f32_e32 v13, v16, v12
	v_fma_f32 v3, -v3, v13, v15
	v_div_fmas_f32 v3, v3, v12, v13
	v_mov_b32_e32 v13, 0
	v_lshl_or_b32 v12, s4, 7, v73
	s_or_b32 s4, s30, 1
	v_div_fixup_f32 v3, v3, v82, v14
	s_cmp_ge_i32 s4, s36
	v_lshlrev_b64 v[12:13], 2, v[12:13]
	v_cndmask_b32_e64 v14, v14, v3, s1
	v_mov_b32_e32 v3, v71
	v_add_co_u32 v12, vcc_lo, s24, v12
	v_add_co_ci_u32_e64 v13, null, s25, v13, vcc_lo
	global_store_dword v[12:13], v14, off
	s_waitcnt_vscnt null, 0x0
	s_barrier
	buffer_gl0_inv
	s_cbranch_scc1 .LBB22_60
; %bb.57:
	ds_read_b32 v3, v10 offset:128
	v_mov_b32_e32 v16, 0x10001
	s_waitcnt lgkmcnt(0)
	ds_bpermute_b32 v10, v5, v3
	v_max_f32_e32 v3, v3, v3
	s_waitcnt lgkmcnt(0)
	v_max_f32_e32 v10, v10, v10
	v_max_f32_e32 v3, v3, v10
	ds_bpermute_b32 v10, v6, v3
	s_waitcnt lgkmcnt(0)
	v_max_f32_e32 v10, v10, v10
	v_max_f32_e32 v3, v3, v10
	ds_bpermute_b32 v10, v7, v3
	;; [unrolled: 4-line block ×4, first 2 shown]
	s_waitcnt lgkmcnt(0)
	v_max_f32_e32 v10, v10, v10
	v_max_f32_e32 v3, v3, v10
	v_sub_f32_e32 v10, v71, v3
	v_mul_f32_e32 v12, 0x3fb8aa3b, v10
	v_cmp_ngt_f32_e32 vcc_lo, 0xc2ce8ed0, v10
	v_fma_f32 v13, 0x3fb8aa3b, v10, -v12
	v_rndne_f32_e32 v14, v12
	v_fmamk_f32 v13, v10, 0x32a5705f, v13
	v_sub_f32_e32 v12, v12, v14
	v_add_f32_e32 v12, v12, v13
	v_cvt_i32_f32_e32 v13, v14
	v_exp_f32_e32 v12, v12
	v_ldexp_f32 v12, v12, v13
	ds_read_b64 v[13:14], v76 offset:8
	v_cndmask_b32_e32 v12, 0, v12, vcc_lo
	v_cmp_nlt_f32_e32 vcc_lo, 0x42b17218, v10
	v_cndmask_b32_e32 v15, 0x7f800000, v12, vcc_lo
	v_mul_f32_e32 v10, v81, v15
	ds_bpermute_b32 v10, v5, v10
	s_waitcnt lgkmcnt(0)
	v_fmac_f32_e32 v10, v81, v15
	v_cvt_f16_f32_e32 v15, v15
	ds_bpermute_b32 v12, v6, v10
	v_mul_u32_u24_sdwa v15, v15, v16 dst_sel:DWORD dst_unused:UNUSED_PAD src0_sel:WORD_0 src1_sel:DWORD
	v_pk_mul_f16 v13, v13, v15
	v_pk_mul_f16 v14, v14, v15
	ds_write_b64 v76, v[13:14] offset:8
	ds_write_b64 v11, v[13:14]
	s_waitcnt lgkmcnt(2)
	v_add_f32_e32 v10, v10, v12
	ds_bpermute_b32 v12, v7, v10
	s_waitcnt lgkmcnt(0)
	v_add_f32_e32 v10, v10, v12
	ds_bpermute_b32 v12, v8, v10
	;; [unrolled: 3-line block ×3, first 2 shown]
	s_and_saveexec_b32 s4, s0
	s_cbranch_execz .LBB22_59
; %bb.58:
	s_waitcnt lgkmcnt(0)
	v_add_f32_e32 v10, v10, v12
	ds_write_b32 v1, v10 offset:128
.LBB22_59:
	s_or_b32 exec_lo, exec_lo, s4
	s_waitcnt lgkmcnt(0)
	s_barrier
	buffer_gl0_inv
	ds_read_b32 v1, v4 offset:128
	ds_read_u16 v4, v75
	ds_read_u16 v10, v75 offset:256
	ds_read_u16 v11, v75 offset:512
	;; [unrolled: 1-line block ×3, first 2 shown]
	s_add_i32 s3, s3, s37
	s_mul_i32 s0, s2, s3
	s_add_i32 s0, s0, s34
	s_waitcnt lgkmcnt(4)
	ds_bpermute_b32 v5, v5, v1
	s_waitcnt lgkmcnt(4)
	v_cvt_f32_f16_e32 v4, v4
	v_add_f32_e32 v4, 0, v4
	s_waitcnt lgkmcnt(0)
	v_add_f32_e32 v1, v1, v5
	ds_bpermute_b32 v5, v6, v1
	v_cvt_f32_f16_e32 v6, v10
	v_add_f32_e32 v4, v4, v6
	v_cvt_f32_f16_e32 v6, v12
	s_waitcnt lgkmcnt(0)
	v_add_f32_e32 v1, v1, v5
	ds_bpermute_b32 v5, v7, v1
	v_cvt_f32_f16_e32 v7, v11
	v_add_f32_e32 v4, v4, v7
	v_add_f32_e32 v6, v4, v6
	s_waitcnt lgkmcnt(0)
	v_add_f32_e32 v1, v1, v5
	ds_bpermute_b32 v5, v8, v1
	s_waitcnt lgkmcnt(0)
	v_add_f32_e32 v1, v1, v5
	ds_bpermute_b32 v5, v9, v1
	s_waitcnt lgkmcnt(0)
	v_add_f32_e32 v81, v1, v5
	v_div_scale_f32 v1, null, v81, v81, v6
	v_div_scale_f32 v5, vcc_lo, v6, v81, v6
	v_rcp_f32_e32 v7, v1
	v_fma_f32 v4, -v1, v7, 1.0
	v_fmac_f32_e32 v7, v4, v7
	v_mul_f32_e32 v8, v5, v7
	v_fma_f32 v4, -v1, v8, v5
	v_fmac_f32_e32 v8, v4, v7
	v_lshl_or_b32 v4, s0, 7, v73
	v_fma_f32 v1, -v1, v8, v5
	v_mov_b32_e32 v5, 0
	v_div_fmas_f32 v1, v1, v7, v8
	v_lshlrev_b64 v[4:5], 2, v[4:5]
	v_div_fixup_f32 v1, v1, v81, v6
	v_add_co_u32 v4, vcc_lo, s24, v4
	v_add_co_ci_u32_e64 v5, null, s25, v5, vcc_lo
	v_cndmask_b32_e64 v1, v6, v1, s1
	global_store_dword v[4:5], v1, off
.LBB22_60:
	v_mov_b32_e32 v71, v3
	v_mov_b32_e32 v70, v2
.LBB22_61:
	v_or_b32_e32 v0, s30, v0
	v_cmp_gt_u32_e32 vcc_lo, 2, v73
	s_waitcnt lgkmcnt(0)
	s_cmp_lg_u32 s2, 1
	s_cselect_b32 s1, -1, 0
	v_cmp_gt_i32_e64 s0, s36, v0
	s_and_b32 s1, s1, vcc_lo
	s_and_b32 s0, s1, s0
	s_and_saveexec_b32 s1, s0
	s_cbranch_execz .LBB22_63
; %bb.62:
	v_mad_u64_u32 v[0:1], null, s33, s36, v[0:1]
	v_cmp_eq_u32_e32 vcc_lo, 1, v73
	v_cndmask_b32_e32 v2, v70, v71, vcc_lo
	v_mad_u64_u32 v[0:1], null, v0, s37, s[38:39]
	v_cndmask_b32_e32 v3, v82, v81, vcc_lo
	v_mad_u64_u32 v[0:1], null, s2, v0, s[34:35]
	v_mov_b32_e32 v1, 0
	v_lshlrev_b64 v[0:1], 3, v[0:1]
	v_add_co_u32 v0, vcc_lo, s26, v0
	v_add_co_ci_u32_e64 v1, null, s27, v1, vcc_lo
	global_store_dwordx2 v[0:1], v[2:3], off
.LBB22_63:
	s_endpgm
	.section	.rodata,"a",@progbits
	.p2align	6, 0x0
	.amdhsa_kernel _ZL18flash_attn_ext_vecILi128ELi2EL9ggml_type2ELS0_8ELb1EEvPKcS2_S2_S2_S2_PKiPfP15HIP_vector_typeIfLj2EEffffjfiS6_IjLj3EEiiiiiiiiiiiliiliiiiil
		.amdhsa_group_segment_fixed_size 3584
		.amdhsa_private_segment_fixed_size 0
		.amdhsa_kernarg_size 464
		.amdhsa_user_sgpr_count 8
		.amdhsa_user_sgpr_private_segment_buffer 1
		.amdhsa_user_sgpr_dispatch_ptr 1
		.amdhsa_user_sgpr_queue_ptr 0
		.amdhsa_user_sgpr_kernarg_segment_ptr 1
		.amdhsa_user_sgpr_dispatch_id 0
		.amdhsa_user_sgpr_flat_scratch_init 0
		.amdhsa_user_sgpr_private_segment_size 0
		.amdhsa_wavefront_size32 1
		.amdhsa_uses_dynamic_stack 0
		.amdhsa_system_sgpr_private_segment_wavefront_offset 0
		.amdhsa_system_sgpr_workgroup_id_x 1
		.amdhsa_system_sgpr_workgroup_id_y 1
		.amdhsa_system_sgpr_workgroup_id_z 1
		.amdhsa_system_sgpr_workgroup_info 0
		.amdhsa_system_vgpr_workitem_id 2
		.amdhsa_next_free_vgpr 252
		.amdhsa_next_free_sgpr 52
		.amdhsa_reserve_vcc 1
		.amdhsa_reserve_flat_scratch 0
		.amdhsa_float_round_mode_32 0
		.amdhsa_float_round_mode_16_64 0
		.amdhsa_float_denorm_mode_32 3
		.amdhsa_float_denorm_mode_16_64 3
		.amdhsa_dx10_clamp 1
		.amdhsa_ieee_mode 1
		.amdhsa_fp16_overflow 0
		.amdhsa_workgroup_processor_mode 1
		.amdhsa_memory_ordered 1
		.amdhsa_forward_progress 1
		.amdhsa_shared_vgpr_count 0
		.amdhsa_exception_fp_ieee_invalid_op 0
		.amdhsa_exception_fp_denorm_src 0
		.amdhsa_exception_fp_ieee_div_zero 0
		.amdhsa_exception_fp_ieee_overflow 0
		.amdhsa_exception_fp_ieee_underflow 0
		.amdhsa_exception_fp_ieee_inexact 0
		.amdhsa_exception_int_div_zero 0
	.end_amdhsa_kernel
	.section	.text._ZL18flash_attn_ext_vecILi128ELi2EL9ggml_type2ELS0_8ELb1EEvPKcS2_S2_S2_S2_PKiPfP15HIP_vector_typeIfLj2EEffffjfiS6_IjLj3EEiiiiiiiiiiiliiliiiiil,"axG",@progbits,_ZL18flash_attn_ext_vecILi128ELi2EL9ggml_type2ELS0_8ELb1EEvPKcS2_S2_S2_S2_PKiPfP15HIP_vector_typeIfLj2EEffffjfiS6_IjLj3EEiiiiiiiiiiiliiliiiiil,comdat
.Lfunc_end22:
	.size	_ZL18flash_attn_ext_vecILi128ELi2EL9ggml_type2ELS0_8ELb1EEvPKcS2_S2_S2_S2_PKiPfP15HIP_vector_typeIfLj2EEffffjfiS6_IjLj3EEiiiiiiiiiiiliiliiiiil, .Lfunc_end22-_ZL18flash_attn_ext_vecILi128ELi2EL9ggml_type2ELS0_8ELb1EEvPKcS2_S2_S2_S2_PKiPfP15HIP_vector_typeIfLj2EEffffjfiS6_IjLj3EEiiiiiiiiiiiliiliiiiil
                                        ; -- End function
	.set _ZL18flash_attn_ext_vecILi128ELi2EL9ggml_type2ELS0_8ELb1EEvPKcS2_S2_S2_S2_PKiPfP15HIP_vector_typeIfLj2EEffffjfiS6_IjLj3EEiiiiiiiiiiiliiliiiiil.num_vgpr, 252
	.set _ZL18flash_attn_ext_vecILi128ELi2EL9ggml_type2ELS0_8ELb1EEvPKcS2_S2_S2_S2_PKiPfP15HIP_vector_typeIfLj2EEffffjfiS6_IjLj3EEiiiiiiiiiiiliiliiiiil.num_agpr, 0
	.set _ZL18flash_attn_ext_vecILi128ELi2EL9ggml_type2ELS0_8ELb1EEvPKcS2_S2_S2_S2_PKiPfP15HIP_vector_typeIfLj2EEffffjfiS6_IjLj3EEiiiiiiiiiiiliiliiiiil.numbered_sgpr, 52
	.set _ZL18flash_attn_ext_vecILi128ELi2EL9ggml_type2ELS0_8ELb1EEvPKcS2_S2_S2_S2_PKiPfP15HIP_vector_typeIfLj2EEffffjfiS6_IjLj3EEiiiiiiiiiiiliiliiiiil.num_named_barrier, 0
	.set _ZL18flash_attn_ext_vecILi128ELi2EL9ggml_type2ELS0_8ELb1EEvPKcS2_S2_S2_S2_PKiPfP15HIP_vector_typeIfLj2EEffffjfiS6_IjLj3EEiiiiiiiiiiiliiliiiiil.private_seg_size, 0
	.set _ZL18flash_attn_ext_vecILi128ELi2EL9ggml_type2ELS0_8ELb1EEvPKcS2_S2_S2_S2_PKiPfP15HIP_vector_typeIfLj2EEffffjfiS6_IjLj3EEiiiiiiiiiiiliiliiiiil.uses_vcc, 1
	.set _ZL18flash_attn_ext_vecILi128ELi2EL9ggml_type2ELS0_8ELb1EEvPKcS2_S2_S2_S2_PKiPfP15HIP_vector_typeIfLj2EEffffjfiS6_IjLj3EEiiiiiiiiiiiliiliiiiil.uses_flat_scratch, 0
	.set _ZL18flash_attn_ext_vecILi128ELi2EL9ggml_type2ELS0_8ELb1EEvPKcS2_S2_S2_S2_PKiPfP15HIP_vector_typeIfLj2EEffffjfiS6_IjLj3EEiiiiiiiiiiiliiliiiiil.has_dyn_sized_stack, 0
	.set _ZL18flash_attn_ext_vecILi128ELi2EL9ggml_type2ELS0_8ELb1EEvPKcS2_S2_S2_S2_PKiPfP15HIP_vector_typeIfLj2EEffffjfiS6_IjLj3EEiiiiiiiiiiiliiliiiiil.has_recursion, 0
	.set _ZL18flash_attn_ext_vecILi128ELi2EL9ggml_type2ELS0_8ELb1EEvPKcS2_S2_S2_S2_PKiPfP15HIP_vector_typeIfLj2EEffffjfiS6_IjLj3EEiiiiiiiiiiiliiliiiiil.has_indirect_call, 0
	.section	.AMDGPU.csdata,"",@progbits
; Kernel info:
; codeLenInByte = 20160
; TotalNumSgprs: 54
; NumVgprs: 252
; ScratchSize: 0
; MemoryBound: 0
; FloatMode: 240
; IeeeMode: 1
; LDSByteSize: 3584 bytes/workgroup (compile time only)
; SGPRBlocks: 0
; VGPRBlocks: 31
; NumSGPRsForWavesPerEU: 54
; NumVGPRsForWavesPerEU: 252
; Occupancy: 4
; WaveLimiterHint : 0
; COMPUTE_PGM_RSRC2:SCRATCH_EN: 0
; COMPUTE_PGM_RSRC2:USER_SGPR: 8
; COMPUTE_PGM_RSRC2:TRAP_HANDLER: 0
; COMPUTE_PGM_RSRC2:TGID_X_EN: 1
; COMPUTE_PGM_RSRC2:TGID_Y_EN: 1
; COMPUTE_PGM_RSRC2:TGID_Z_EN: 1
; COMPUTE_PGM_RSRC2:TIDIG_COMP_CNT: 2
	.section	.text._ZL18flash_attn_ext_vecILi256ELi1EL9ggml_type2ELS0_8ELb0EEvPKcS2_S2_S2_S2_PKiPfP15HIP_vector_typeIfLj2EEffffjfiS6_IjLj3EEiiiiiiiiiiiliiliiiiil,"axG",@progbits,_ZL18flash_attn_ext_vecILi256ELi1EL9ggml_type2ELS0_8ELb0EEvPKcS2_S2_S2_S2_PKiPfP15HIP_vector_typeIfLj2EEffffjfiS6_IjLj3EEiiiiiiiiiiiliiliiiiil,comdat
	.globl	_ZL18flash_attn_ext_vecILi256ELi1EL9ggml_type2ELS0_8ELb0EEvPKcS2_S2_S2_S2_PKiPfP15HIP_vector_typeIfLj2EEffffjfiS6_IjLj3EEiiiiiiiiiiiliiliiiiil ; -- Begin function _ZL18flash_attn_ext_vecILi256ELi1EL9ggml_type2ELS0_8ELb0EEvPKcS2_S2_S2_S2_PKiPfP15HIP_vector_typeIfLj2EEffffjfiS6_IjLj3EEiiiiiiiiiiiliiliiiiil
	.p2align	8
	.type	_ZL18flash_attn_ext_vecILi256ELi1EL9ggml_type2ELS0_8ELb0EEvPKcS2_S2_S2_S2_PKiPfP15HIP_vector_typeIfLj2EEffffjfiS6_IjLj3EEiiiiiiiiiiiliiliiiiil,@function
_ZL18flash_attn_ext_vecILi256ELi1EL9ggml_type2ELS0_8ELb0EEvPKcS2_S2_S2_S2_PKiPfP15HIP_vector_typeIfLj2EEffffjfiS6_IjLj3EEiiiiiiiiiiiliiliiiiil: ; @_ZL18flash_attn_ext_vecILi256ELi1EL9ggml_type2ELS0_8ELb0EEvPKcS2_S2_S2_S2_PKiPfP15HIP_vector_typeIfLj2EEffffjfiS6_IjLj3EEiiiiiiiiiiiliiliiiiil
; %bb.0:
	s_clause 0x3
	s_load_dwordx2 s[28:29], s[4:5], 0x64
	s_load_dwordx2 s[34:35], s[4:5], 0x80
	;; [unrolled: 1-line block ×3, first 2 shown]
	s_load_dwordx4 s[24:27], s[4:5], 0x40
	v_mov_b32_e32 v67, 1.0
	s_waitcnt lgkmcnt(0)
	v_cvt_f32_u32_e32 v2, s29
	s_sub_i32 s1, 0, s29
	v_rcp_iflag_f32_e32 v2, v2
	v_mul_f32_e32 v2, 0x4f7ffffe, v2
	v_cvt_u32_f32_e32 v2, v2
	v_readfirstlane_b32 s0, v2
	s_mul_i32 s1, s1, s0
	s_mul_hi_u32 s1, s0, s1
	s_add_i32 s0, s0, s1
	s_mul_hi_u32 s0, s8, s0
	s_mul_i32 s1, s0, s29
	s_add_i32 s2, s0, 1
	s_sub_i32 s1, s8, s1
	s_sub_i32 s3, s1, s29
	s_cmp_ge_u32 s1, s29
	s_cselect_b32 s0, s2, s0
	s_cselect_b32 s1, s3, s1
	s_add_i32 s2, s0, 1
	s_cmp_ge_u32 s1, s29
	s_cselect_b32 s33, s2, s0
	s_abs_i32 s0, s35
	s_abs_i32 s9, s29
	v_cvt_f32_u32_e32 v2, s0
	s_sub_i32 s2, 0, s0
	s_xor_b32 s3, s29, s35
	s_ashr_i32 s3, s3, 31
	v_rcp_iflag_f32_e32 v2, v2
	v_mul_f32_e32 v2, 0x4f7ffffe, v2
	v_cvt_u32_f32_e32 v2, v2
	v_readfirstlane_b32 s1, v2
	s_mul_i32 s2, s2, s1
	s_mul_hi_u32 s2, s1, s2
	s_add_i32 s1, s1, s2
	s_mul_i32 s2, s33, s29
	s_mul_hi_u32 s1, s9, s1
	s_sub_i32 s30, s8, s2
	s_mul_i32 s10, s1, s0
	s_add_i32 s8, s1, 1
	s_sub_i32 s2, s9, s10
	s_sub_i32 s9, s2, s0
	s_cmp_ge_u32 s2, s0
	s_cselect_b32 s1, s8, s1
	s_cselect_b32 s2, s9, s2
	s_add_i32 s8, s1, 1
	s_cmp_ge_u32 s2, s0
	s_cselect_b32 s0, s8, s1
	s_abs_i32 s35, s36
	s_xor_b32 s0, s0, s3
	v_cvt_f32_u32_e32 v2, s35
	s_sub_i32 s38, s0, s3
	s_load_dword s0, s[4:5], 0x50
	s_abs_i32 s41, s38
	v_cmp_le_f32_e64 s1, s25, 0
	v_cvt_f32_u32_e32 v3, s41
	v_rcp_iflag_f32_e32 v2, v2
	s_sub_i32 s2, 0, s41
	s_abs_i32 s42, s30
	s_and_b32 vcc_lo, exec_lo, s1
	v_rcp_iflag_f32_e32 v3, v3
	s_sub_i32 s1, 0, s35
	s_abs_i32 s40, s33
	v_mul_f32_e32 v2, 0x4f7ffffe, v2
	v_mul_f32_e32 v3, 0x4f7ffffe, v3
	v_cvt_u32_f32_e32 v2, v2
	v_cvt_u32_f32_e32 v3, v3
	v_readfirstlane_b32 s3, v2
	v_readfirstlane_b32 s25, v3
	s_mul_i32 s1, s1, s3
	s_mul_hi_u32 s1, s3, s1
	s_mul_i32 s2, s2, s25
	s_add_i32 s3, s3, s1
	s_mul_hi_u32 s2, s25, s2
	s_add_i32 s25, s25, s2
	s_cbranch_vccnz .LBB23_2
; %bb.1:
	s_waitcnt lgkmcnt(0)
	v_sub_co_u32 v3, vcc_lo, s30, s0
	v_mov_b32_e32 v2, s26
	s_add_i32 s0, s30, 1
	v_lshlrev_b32_e32 v3, 1, v3
	v_cndmask_b32_e32 v2, s27, v2, vcc_lo
	v_or_b32_e32 v3, 1, v3
	v_cndmask_b32_e64 v3, v3, s0, vcc_lo
	v_cmp_neq_f32_e32 vcc_lo, 1.0, v2
	s_mov_b32 s0, 0x3e76c4e1
	v_cvt_f32_i32_e32 v3, v3
	v_cndmask_b32_e32 v4, 1.0, v3, vcc_lo
	v_cmp_neq_f32_e32 vcc_lo, 0, v4
	v_cndmask_b32_e32 v5, 1.0, v2, vcc_lo
	v_frexp_mant_f32_e64 v2, |v5|
	v_cmp_eq_f32_e64 s2, 0, v5
	v_cmp_gt_f32_e32 vcc_lo, 0x3f2aaaab, v2
	v_cndmask_b32_e64 v3, 1.0, 2.0, vcc_lo
	v_mul_f32_e32 v2, v2, v3
	v_add_f32_e32 v3, 1.0, v2
	v_add_f32_e32 v7, -1.0, v2
	v_rcp_f32_e32 v6, v3
	v_add_f32_e32 v9, -1.0, v3
	v_sub_f32_e32 v2, v2, v9
	v_mul_f32_e32 v8, v7, v6
	v_mul_f32_e32 v10, v3, v8
	v_fma_f32 v3, v8, v3, -v10
	v_fmac_f32_e32 v3, v8, v2
	v_add_f32_e32 v2, v10, v3
	v_sub_f32_e32 v9, v7, v2
	v_sub_f32_e32 v10, v2, v10
	;; [unrolled: 1-line block ×5, first 2 shown]
	v_add_f32_e32 v2, v3, v2
	v_add_f32_e32 v2, v9, v2
	v_mul_f32_e32 v2, v6, v2
	v_add_f32_e32 v6, v8, v2
	v_sub_f32_e32 v3, v6, v8
	v_mul_f32_e32 v7, v6, v6
	v_sub_f32_e32 v8, v2, v3
	v_fma_f32 v2, v6, v6, -v7
	v_add_f32_e32 v3, v8, v8
	v_fmac_f32_e32 v2, v6, v3
	v_add_f32_e32 v9, v7, v2
	v_fmaak_f32 v3, s0, v9, 0x3e91f4c4
	v_sub_f32_e32 v7, v9, v7
	v_mul_f32_e32 v14, v6, v9
	v_fmaak_f32 v3, v9, v3, 0x3ecccdef
	v_sub_f32_e32 v7, v2, v7
	v_fma_f32 v15, v9, v6, -v14
	v_mul_f32_e32 v10, v9, v3
	v_fmac_f32_e32 v15, v9, v8
	v_ldexp_f32 v8, v8, 1
	v_fma_f32 v11, v9, v3, -v10
	v_fmac_f32_e32 v15, v7, v6
	v_fmac_f32_e32 v11, v7, v3
	v_cvt_f64_f32_e64 v[2:3], |v5|
	v_add_f32_e32 v12, v10, v11
	v_sub_f32_e32 v10, v12, v10
	v_add_f32_e32 v13, 0x3f2aaaaa, v12
	v_sub_f32_e32 v10, v11, v10
	v_add_f32_e32 v11, 0xbf2aaaaa, v13
	v_add_f32_e32 v10, 0x31739010, v10
	v_sub_f32_e32 v11, v12, v11
	v_frexp_exp_i32_f64_e32 v2, v[2:3]
	v_add_f32_e32 v9, v10, v11
	v_add_f32_e32 v10, v14, v15
	;; [unrolled: 1-line block ×3, first 2 shown]
	v_sub_f32_e32 v12, v10, v14
	v_sub_f32_e32 v3, v13, v7
	v_mul_f32_e32 v11, v10, v7
	v_sub_f32_e32 v12, v15, v12
	v_add_f32_e32 v3, v9, v3
	v_fma_f32 v9, v10, v7, -v11
	v_subrev_co_ci_u32_e64 v2, null, 0, v2, vcc_lo
	v_fmac_f32_e32 v9, v10, v3
	v_ldexp_f32 v3, v6, 1
	v_cvt_f32_i32_e32 v2, v2
	v_fmac_f32_e32 v9, v12, v7
	v_add_f32_e32 v6, v11, v9
	v_add_f32_e32 v7, v3, v6
	v_sub_f32_e32 v10, v6, v11
	v_mul_f32_e32 v11, 0x3f317218, v2
	v_sub_f32_e32 v3, v7, v3
	v_sub_f32_e32 v9, v9, v10
	v_fma_f32 v10, 0x3f317218, v2, -v11
	v_sub_f32_e32 v3, v6, v3
	v_add_f32_e32 v6, v8, v9
	v_fmamk_f32 v2, v2, 0xb102e308, v10
	v_add_f32_e32 v3, v6, v3
	v_add_f32_e32 v6, v11, v2
	;; [unrolled: 1-line block ×3, first 2 shown]
	v_sub_f32_e32 v11, v6, v11
	v_add_f32_e32 v9, v6, v8
	v_sub_f32_e32 v7, v8, v7
	v_sub_f32_e32 v2, v2, v11
	;; [unrolled: 1-line block ×6, first 2 shown]
	v_add_f32_e32 v8, v2, v3
	v_sub_f32_e32 v6, v6, v12
	v_add_f32_e32 v6, v7, v6
	v_sub_f32_e32 v7, v8, v2
	;; [unrolled: 2-line block ×3, first 2 shown]
	v_sub_f32_e32 v3, v3, v7
	v_add_f32_e32 v10, v9, v6
	v_sub_f32_e32 v2, v2, v8
	v_sub_f32_e32 v7, v10, v9
	v_add_f32_e32 v2, v3, v2
	v_sub_f32_e32 v3, v6, v7
	v_add_f32_e32 v2, v2, v3
	v_add_f32_e32 v3, v10, v2
	v_sub_f32_e32 v6, v3, v10
	v_mul_f32_e32 v7, v4, v3
	v_sub_f32_e32 v2, v2, v6
	v_fma_f32 v3, v4, v3, -v7
	v_cmp_class_f32_e64 vcc_lo, v7, 0x204
	v_fmac_f32_e32 v3, v4, v2
	v_add_f32_e32 v2, v7, v3
	v_cndmask_b32_e32 v6, v2, v7, vcc_lo
	v_sub_f32_e32 v2, v2, v7
	v_cmp_eq_f32_e32 vcc_lo, 0x42b17218, v6
	v_sub_f32_e32 v2, v3, v2
	v_cndmask_b32_e64 v8, 0, 0x37000000, vcc_lo
	v_cmp_neq_f32_e64 vcc_lo, 0x7f800000, |v6|
	v_sub_f32_e32 v9, v6, v8
	v_cndmask_b32_e32 v2, 0, v2, vcc_lo
	v_trunc_f32_e32 v6, v4
	v_mul_f32_e32 v10, 0x3fb8aa3b, v9
	v_cmp_ngt_f32_e32 vcc_lo, 0xc2ce8ed0, v9
	v_add_f32_e32 v2, v8, v2
	v_fma_f32 v11, 0x3fb8aa3b, v9, -v10
	v_rndne_f32_e32 v12, v10
	v_fmamk_f32 v11, v9, 0x32a5705f, v11
	v_sub_f32_e32 v10, v10, v12
	v_cvt_i32_f32_e32 v7, v12
	v_add_f32_e32 v10, v10, v11
	v_exp_f32_e32 v10, v10
	v_ldexp_f32 v3, v10, v7
	v_mul_f32_e32 v7, 0.5, v4
	v_cndmask_b32_e32 v3, 0, v3, vcc_lo
	v_cmp_nlt_f32_e32 vcc_lo, 0x42b17218, v9
	v_trunc_f32_e32 v10, v7
	v_cndmask_b32_e32 v3, 0x7f800000, v3, vcc_lo
	v_cmp_eq_f32_e32 vcc_lo, v6, v4
	v_cmp_neq_f32_e64 s0, v10, v7
	v_fma_f32 v2, v3, v2, v3
	v_cmp_class_f32_e64 s1, v3, 0x204
	s_and_b32 s0, vcc_lo, s0
	v_cndmask_b32_e64 v6, 1.0, v5, s0
	v_cndmask_b32_e64 v2, v2, v3, s1
	v_cmp_gt_f32_e64 s1, 0, v4
	v_bfi_b32 v2, 0x7fffffff, v2, v6
	s_xor_b32 s1, s1, s2
	v_cndmask_b32_e64 v6, 0, v5, s0
	v_cndmask_b32_e64 v3, 0x7f800000, 0, s1
	v_cmp_class_f32_e64 s0, v5, 0x204
	v_cndmask_b32_e32 v4, 0x7fc00000, v2, vcc_lo
	v_cmp_gt_f32_e32 vcc_lo, 0, v5
	v_bfi_b32 v3, 0x7fffffff, v3, v6
	v_cndmask_b32_e32 v2, v2, v4, vcc_lo
	s_or_b32 vcc_lo, s2, s0
	v_cndmask_b32_e32 v2, v2, v3, vcc_lo
	v_cmp_o_f32_e32 vcc_lo, v5, v5
	v_cndmask_b32_e32 v67, 0x7fc00000, v2, vcc_lo
.LBB23_2:
	s_load_dwordx16 s[8:23], s[4:5], 0x0
	s_waitcnt lgkmcnt(0)
	v_cmp_eq_u32_e64 s0, 0, v1
	v_mbcnt_lo_u32_b32 v66, -1, 0
	s_mul_hi_u32 s43, s42, s25
	s_mul_hi_u32 s36, s40, s3
	s_and_saveexec_b32 s25, s0
	s_cbranch_execz .LBB23_11
; %bb.3:
	s_load_dwordx4 s[44:47], s[4:5], 0x70
	v_lshlrev_b32_e32 v15, 4, v0
	v_xor_b32_e32 v6, 4, v66
	v_xor_b32_e32 v8, 2, v66
	;; [unrolled: 1-line block ×3, first 2 shown]
	v_cmp_gt_i32_e32 vcc_lo, 32, v6
	s_waitcnt lgkmcnt(0)
	s_mul_i32 s1, s33, s46
	s_mul_i32 s2, s44, s6
	;; [unrolled: 1-line block ×3, first 2 shown]
	s_add_i32 s1, s1, s2
	s_add_i32 s1, s1, s3
	s_ashr_i32 s3, s1, 31
	s_add_u32 s2, s8, s1
	s_addc_u32 s3, s9, s3
	s_mov_b32 s8, exec_lo
	global_load_dwordx4 v[2:5], v15, s[2:3]
	s_waitcnt vmcnt(0)
	v_mul_f32_e32 v9, s24, v2
	v_mul_f32_e32 v11, s24, v3
	v_cndmask_b32_e32 v3, v66, v6, vcc_lo
	v_mul_f32_e32 v13, s24, v4
	v_mul_f32_e32 v12, s24, v5
	v_cmp_gt_i32_e32 vcc_lo, 32, v8
	v_max_f32_e64 v7, |v9|, |v11|
	v_lshlrev_b32_e32 v6, 2, v3
	v_fma_f32 v2, s24, v2, v11
	v_cndmask_b32_e32 v8, v66, v8, vcc_lo
	v_max3_f32 v3, v7, |v13|, |v12|
	v_cmp_gt_i32_e32 vcc_lo, 32, v10
	v_fmac_f32_e32 v2, s24, v4
	v_lshlrev_b32_e32 v8, 2, v8
	ds_bpermute_b32 v7, v6, v3
	v_cndmask_b32_e32 v10, v66, v10, vcc_lo
	v_fmac_f32_e32 v2, s24, v5
	ds_bpermute_b32 v5, v6, v2
	s_waitcnt lgkmcnt(1)
	v_max_f32_e32 v7, v7, v7
	v_max_f32_e32 v3, v3, v7
	s_waitcnt lgkmcnt(0)
	v_add_f32_e32 v2, v2, v5
	ds_bpermute_b32 v7, v8, v3
	s_waitcnt lgkmcnt(0)
	v_max_f32_e32 v14, v7, v7
	v_lshlrev_b32_e32 v7, 2, v10
	v_max_f32_e32 v3, v3, v14
	ds_bpermute_b32 v10, v7, v3
	s_waitcnt lgkmcnt(0)
	v_max_f32_e32 v4, v10, v10
	ds_bpermute_b32 v10, v8, v2
	v_max_f32_e32 v3, v3, v4
	v_div_scale_f32 v4, null, 0x42fe0000, 0x42fe0000, v3
	v_div_scale_f32 v16, vcc_lo, v3, 0x42fe0000, v3
	v_rcp_f32_e32 v14, v4
	v_fma_f32 v5, -v4, v14, 1.0
	v_fmac_f32_e32 v14, v5, v14
	s_waitcnt lgkmcnt(0)
	v_add_f32_e32 v5, v2, v10
	v_mul_f32_e32 v17, v16, v14
	ds_bpermute_b32 v10, v7, v5
	v_fma_f32 v18, -v4, v17, v16
	v_fmac_f32_e32 v17, v18, v14
	v_fma_f32 v2, -v4, v17, v16
	v_div_fmas_f32 v2, v2, v14, v17
	v_mov_b32_e32 v14, 0
	v_div_fixup_f32 v4, v2, 0x42fe0000, v3
	v_add_co_u32 v2, s1, s2, v15
	v_add_co_ci_u32_e64 v3, null, s3, 0, s1
	v_cmpx_neq_f32_e32 0, v4
	s_cbranch_execz .LBB23_5
; %bb.4:
	v_div_scale_f32 v14, null, v4, v4, v9
	v_div_scale_f32 v15, null, v4, v4, v11
	v_div_scale_f32 v17, null, v4, v4, v13
	v_rcp_f32_e32 v16, v14
	v_div_scale_f32 v18, null, v4, v4, v12
	v_rcp_f32_e32 v19, v15
	v_rcp_f32_e32 v20, v17
	v_div_scale_f32 v24, vcc_lo, v9, v4, v9
	v_rcp_f32_e32 v21, v18
	v_fma_f32 v22, -v14, v16, 1.0
	v_fma_f32 v23, -v15, v19, 1.0
	;; [unrolled: 1-line block ×3, first 2 shown]
	v_fmac_f32_e32 v16, v22, v16
	v_div_scale_f32 v22, s1, v11, v4, v11
	v_fma_f32 v26, -v18, v21, 1.0
	v_fmac_f32_e32 v19, v23, v19
	v_fmac_f32_e32 v20, v25, v20
	v_div_scale_f32 v23, s2, v13, v4, v13
	v_fmac_f32_e32 v21, v26, v21
	v_mul_f32_e32 v26, v24, v16
	v_mul_f32_e32 v27, v22, v19
	;; [unrolled: 1-line block ×3, first 2 shown]
	v_div_scale_f32 v25, s3, v12, v4, v12
	v_fma_f32 v30, -v14, v26, v24
	v_fma_f32 v31, -v15, v27, v22
	;; [unrolled: 1-line block ×3, first 2 shown]
	v_mul_f32_e32 v29, v25, v21
	v_fmac_f32_e32 v26, v30, v16
	v_fmac_f32_e32 v27, v31, v19
	;; [unrolled: 1-line block ×3, first 2 shown]
	v_fma_f32 v33, -v18, v29, v25
	v_fma_f32 v14, -v14, v26, v24
	;; [unrolled: 1-line block ×4, first 2 shown]
	v_fmac_f32_e32 v29, v33, v21
	v_div_fmas_f32 v14, v14, v16, v26
	s_mov_b32 vcc_lo, s1
	v_div_fmas_f32 v15, v15, v19, v27
	s_mov_b32 vcc_lo, s2
	v_div_fixup_f32 v9, v14, v4, v9
	v_div_fmas_f32 v16, v17, v20, v28
	v_fma_f32 v17, -v18, v29, v25
	s_mov_b32 vcc_lo, s3
	v_div_fixup_f32 v11, v15, v4, v11
	v_div_fixup_f32 v13, v16, v4, v13
	v_div_fmas_f32 v16, v17, v21, v29
	v_trunc_f32_e32 v15, v11
	v_trunc_f32_e32 v17, v13
	v_div_fixup_f32 v12, v16, v4, v12
	v_trunc_f32_e32 v16, v9
	v_sub_f32_e32 v19, v11, v15
	v_sub_f32_e32 v14, v13, v17
	v_trunc_f32_e32 v18, v12
	v_sub_f32_e32 v21, v9, v16
	v_cmp_ge_f32_e64 s1, |v14|, 0.5
	v_sub_f32_e32 v20, v12, v18
	v_cndmask_b32_e64 v14, 0, 1.0, s1
	v_cmp_ge_f32_e64 s1, |v19|, 0.5
	v_bfi_b32 v13, 0x7fffffff, v14, v13
	v_cndmask_b32_e64 v14, 0, 1.0, s1
	v_cmp_ge_f32_e64 s1, |v20|, 0.5
	v_add_f32_e32 v13, v17, v13
	v_bfi_b32 v11, 0x7fffffff, v14, v11
	v_cndmask_b32_e64 v19, 0, 1.0, s1
	v_cmp_ge_f32_e64 s1, |v21|, 0.5
	v_mov_b32_e32 v14, 8
	v_cvt_i32_f32_e32 v13, v13
	v_add_f32_e32 v11, v15, v11
	v_bfi_b32 v12, 0x7fffffff, v19, v12
	v_cndmask_b32_e64 v17, 0, 1.0, s1
	v_and_b32_e32 v13, 0xff, v13
	v_cvt_i32_f32_e32 v11, v11
	v_add_f32_e32 v12, v18, v12
	v_bfi_b32 v9, 0x7fffffff, v17, v9
	v_lshlrev_b32_e32 v13, 16, v13
	v_lshlrev_b32_sdwa v11, v14, v11 dst_sel:DWORD dst_unused:UNUSED_PAD src0_sel:DWORD src1_sel:BYTE_0
	v_cvt_i32_f32_e32 v12, v12
	v_add_f32_e32 v9, v16, v9
	v_lshl_or_b32 v12, v12, 24, v13
	v_cvt_i32_f32_e32 v9, v9
	v_and_b32_e32 v9, 0xff, v9
	v_or3_b32 v14, v12, v11, v9
.LBB23_5:
	s_or_b32 exec_lo, exec_lo, s8
	v_and_b32_e32 v11, 7, v0
	v_lshlrev_b32_e32 v9, 2, v0
	v_cmp_eq_u32_e64 s1, 0, v11
	ds_write_b32 v9, v14
	s_and_saveexec_b32 s2, s1
	s_cbranch_execz .LBB23_7
; %bb.6:
	s_waitcnt lgkmcnt(1)
	v_add_f32_e32 v5, v5, v10
	ds_write_b64 v0, v[4:5] offset:256
.LBB23_7:
	s_or_b32 exec_lo, exec_lo, s2
	global_load_dwordx4 v[13:16], v[2:3], off offset:512
	s_mov_b32 s9, exec_lo
	s_waitcnt vmcnt(0)
	v_mul_f32_e32 v5, s24, v13
	s_waitcnt lgkmcnt(1)
	v_mul_f32_e32 v10, s24, v14
	v_mul_f32_e32 v12, s24, v15
	;; [unrolled: 1-line block ×3, first 2 shown]
	v_max_f32_e64 v2, |v5|, |v10|
	v_fma_f32 v4, s24, v13, v10
	v_max3_f32 v2, v2, |v12|, |v11|
	v_fmac_f32_e32 v4, s24, v15
	ds_bpermute_b32 v3, v6, v2
	v_fmac_f32_e32 v4, s24, v16
	ds_bpermute_b32 v6, v6, v4
	s_waitcnt lgkmcnt(1)
	v_max_f32_e32 v3, v3, v3
	v_max_f32_e32 v2, v2, v3
	ds_bpermute_b32 v3, v8, v2
	s_waitcnt lgkmcnt(0)
	v_max_f32_e32 v3, v3, v3
	v_max_f32_e32 v2, v2, v3
	;; [unrolled: 4-line block ×3, first 2 shown]
	v_add_f32_e32 v3, v4, v6
	v_div_scale_f32 v13, null, 0x42fe0000, 0x42fe0000, v2
	ds_bpermute_b32 v6, v8, v3
	v_div_scale_f32 v8, vcc_lo, v2, 0x42fe0000, v2
	v_rcp_f32_e32 v14, v13
	v_fma_f32 v4, -v13, v14, 1.0
	v_fmac_f32_e32 v14, v4, v14
	s_waitcnt lgkmcnt(0)
	v_add_f32_e32 v3, v3, v6
	v_mul_f32_e32 v15, v8, v14
	v_fma_f32 v4, -v13, v15, v8
	v_fmac_f32_e32 v15, v4, v14
	ds_bpermute_b32 v4, v7, v3
	v_fma_f32 v6, -v13, v15, v8
	v_div_fmas_f32 v6, v6, v14, v15
	v_div_fixup_f32 v2, v6, 0x42fe0000, v2
	v_mov_b32_e32 v6, 0
	v_cmpx_neq_f32_e32 0, v2
	s_cbranch_execz .LBB23_9
; %bb.8:
	v_div_scale_f32 v6, null, v2, v2, v5
	v_div_scale_f32 v7, null, v2, v2, v10
	;; [unrolled: 1-line block ×3, first 2 shown]
	v_rcp_f32_e32 v8, v6
	v_div_scale_f32 v14, null, v2, v2, v11
	v_rcp_f32_e32 v15, v7
	v_rcp_f32_e32 v16, v13
	v_div_scale_f32 v20, vcc_lo, v5, v2, v5
	v_rcp_f32_e32 v17, v14
	v_fma_f32 v18, -v6, v8, 1.0
	v_fma_f32 v19, -v7, v15, 1.0
	;; [unrolled: 1-line block ×3, first 2 shown]
	v_fmac_f32_e32 v8, v18, v8
	v_div_scale_f32 v18, s2, v10, v2, v10
	v_fma_f32 v22, -v14, v17, 1.0
	v_fmac_f32_e32 v15, v19, v15
	v_fmac_f32_e32 v16, v21, v16
	v_div_scale_f32 v19, s3, v12, v2, v12
	v_fmac_f32_e32 v17, v22, v17
	v_mul_f32_e32 v22, v20, v8
	v_mul_f32_e32 v23, v18, v15
	;; [unrolled: 1-line block ×3, first 2 shown]
	v_div_scale_f32 v21, s8, v11, v2, v11
	v_fma_f32 v26, -v6, v22, v20
	v_fma_f32 v27, -v7, v23, v18
	;; [unrolled: 1-line block ×3, first 2 shown]
	v_mul_f32_e32 v25, v21, v17
	v_fmac_f32_e32 v22, v26, v8
	v_fmac_f32_e32 v23, v27, v15
	;; [unrolled: 1-line block ×3, first 2 shown]
	v_fma_f32 v29, -v14, v25, v21
	v_fma_f32 v6, -v6, v22, v20
	;; [unrolled: 1-line block ×4, first 2 shown]
	v_fmac_f32_e32 v25, v29, v17
	v_div_fmas_f32 v6, v6, v8, v22
	s_mov_b32 vcc_lo, s2
	v_div_fmas_f32 v7, v7, v15, v23
	s_mov_b32 vcc_lo, s3
	v_div_fixup_f32 v5, v6, v2, v5
	v_div_fmas_f32 v8, v13, v16, v24
	v_fma_f32 v13, -v14, v25, v21
	s_mov_b32 vcc_lo, s8
	v_div_fixup_f32 v7, v7, v2, v10
	v_div_fixup_f32 v8, v8, v2, v12
	v_div_fmas_f32 v12, v13, v17, v25
	v_trunc_f32_e32 v13, v8
	v_div_fixup_f32 v6, v12, v2, v11
	v_trunc_f32_e32 v11, v7
	v_trunc_f32_e32 v12, v5
	v_sub_f32_e32 v10, v8, v13
	v_trunc_f32_e32 v14, v6
	v_sub_f32_e32 v15, v7, v11
	v_sub_f32_e32 v17, v5, v12
	v_cmp_ge_f32_e64 s2, |v10|, 0.5
	v_sub_f32_e32 v16, v6, v14
	v_cndmask_b32_e64 v10, 0, 1.0, s2
	v_cmp_ge_f32_e64 s2, |v15|, 0.5
	v_bfi_b32 v8, 0x7fffffff, v10, v8
	v_cndmask_b32_e64 v10, 0, 1.0, s2
	v_cmp_ge_f32_e64 s2, |v16|, 0.5
	v_add_f32_e32 v8, v13, v8
	v_bfi_b32 v7, 0x7fffffff, v10, v7
	v_cndmask_b32_e64 v15, 0, 1.0, s2
	v_cmp_ge_f32_e64 s2, |v17|, 0.5
	v_mov_b32_e32 v10, 8
	v_cvt_i32_f32_e32 v8, v8
	v_add_f32_e32 v7, v11, v7
	v_bfi_b32 v6, 0x7fffffff, v15, v6
	v_cndmask_b32_e64 v13, 0, 1.0, s2
	v_and_b32_e32 v8, 0xff, v8
	v_cvt_i32_f32_e32 v7, v7
	v_add_f32_e32 v6, v14, v6
	v_bfi_b32 v5, 0x7fffffff, v13, v5
	v_lshlrev_b32_e32 v8, 16, v8
	v_lshlrev_b32_sdwa v7, v10, v7 dst_sel:DWORD dst_unused:UNUSED_PAD src0_sel:DWORD src1_sel:BYTE_0
	v_cvt_i32_f32_e32 v6, v6
	v_add_f32_e32 v5, v12, v5
	v_lshl_or_b32 v6, v6, 24, v8
	v_cvt_i32_f32_e32 v5, v5
	v_and_b32_e32 v5, 0xff, v5
	v_or3_b32 v6, v6, v7, v5
.LBB23_9:
	s_or_b32 exec_lo, exec_lo, s9
	ds_write_b32 v9, v6 offset:128
	s_and_b32 exec_lo, exec_lo, s1
	s_cbranch_execz .LBB23_11
; %bb.10:
	s_waitcnt lgkmcnt(1)
	v_add_f32_e32 v3, v3, v4
	ds_write_b64 v0, v[2:3] offset:288
.LBB23_11:
	s_or_b32 exec_lo, exec_lo, s25
	v_and_b32_e32 v19, 1, v0
	v_mov_b32_e32 v75, 0
	s_waitcnt lgkmcnt(0)
	s_barrier
	buffer_gl0_inv
	v_lshlrev_b32_e32 v71, 2, v19
	s_ashr_i32 s31, s30, 31
	s_ashr_i32 s1, s38, 31
	;; [unrolled: 1-line block ×3, first 2 shown]
	s_cmp_eq_u64 s[18:19], 0
	ds_read2_b32 v[34:35], v71 offset1:2
	ds_read2_b32 v[36:37], v71 offset0:4 offset1:6
	ds_read2_b32 v[38:39], v71 offset0:8 offset1:10
	;; [unrolled: 1-line block ×3, first 2 shown]
	ds_read_b128 v[2:5], v75 offset:256
	ds_read_b128 v[6:9], v75 offset:272
	;; [unrolled: 1-line block ×4, first 2 shown]
	ds_read2_b32 v[42:43], v71 offset0:16 offset1:18
	ds_read2_b32 v[44:45], v71 offset0:20 offset1:22
	;; [unrolled: 1-line block ×12, first 2 shown]
	s_waitcnt lgkmcnt(0)
	s_barrier
	buffer_gl0_inv
	s_cbranch_scc1 .LBB23_13
; %bb.12:
	s_load_dword s2, s[4:5], 0xd0
	s_mov_b32 s3, 0
	s_waitcnt lgkmcnt(0)
	s_mul_i32 s2, s2, s33
	s_add_i32 s2, s2, s6
	s_lshl_b64 s[2:3], s[2:3], 2
	s_add_u32 s2, s18, s2
	s_addc_u32 s3, s19, s3
	s_load_dword s34, s[2:3], 0x0
.LBB23_13:
	v_lshlrev_b32_e32 v18, 5, v1
	v_lshlrev_b32_e32 v70, 2, v0
	s_lshl_b32 s2, s7, 7
	s_mov_b32 s9, 0
	s_waitcnt lgkmcnt(0)
	s_cmp_ge_i32 s2, s34
	v_add_nc_u32_e32 v68, v18, v0
	v_lshlrev_b32_e32 v69, 1, v68
	s_cbranch_scc1 .LBB23_21
; %bb.14:
	s_clause 0x1
	s_load_dwordx4 s[24:27], s[4:5], 0x98
	s_load_dwordx2 s[18:19], s[4:5], 0x8c
	s_mul_i32 s49, s43, s41
	s_xor_b32 s45, s31, s1
	s_sub_i32 s42, s42, s49
	s_add_i32 s47, s43, 1
	s_mul_i32 s46, s36, s35
	s_mul_i32 s44, s37, s6
	s_clause 0x2
	s_load_dwordx2 s[38:39], s[4:5], 0xa8
	s_load_dwordx2 s[36:37], s[4:5], 0xc8
	s_load_dword s48, s[4:5], 0xd4
	s_sub_i32 s49, s42, s41
	v_cmp_eq_u32_e64 s1, 0, v19
	v_xor_b32_e32 v19, 2, v66
	v_xor_b32_e32 v28, 4, v66
	v_and_b32_e32 v20, 0x7e, v0
	v_xor_b32_e32 v29, 8, v66
	v_and_b32_e32 v27, 30, v66
	v_cmp_gt_i32_e32 vcc_lo, 32, v19
	v_xor_b32_e32 v30, 16, v66
	v_add_nc_u32_e32 v82, v18, v20
	v_xor_b32_e32 v21, 1, v66
	s_waitcnt lgkmcnt(0)
	v_mul_lo_u32 v72, v18, s26
	s_mul_hi_u32 s50, s24, s33
	s_mul_i32 s51, s24, s8
	s_mul_i32 s25, s25, s33
	s_add_i32 s50, s50, s51
	s_mul_i32 s24, s24, s33
	s_add_i32 s50, s50, s25
	s_cmp_ge_u32 s42, s41
	v_add_nc_u32_e32 v73, s26, v72
	s_cselect_b32 s25, s47, s43
	s_cselect_b32 s42, s49, s42
	s_add_i32 s43, s25, 1
	s_cmp_ge_u32 s42, s41
	v_add_nc_u32_e32 v76, s26, v73
	s_cselect_b32 s25, s43, s25
	s_mul_hi_u32 s51, s38, s33
	s_xor_b32 s25, s25, s45
	s_mul_i32 s41, s38, s8
	v_add_nc_u32_e32 v79, s26, v76
	s_sub_i32 s25, s25, s45
	s_mul_i32 s39, s39, s33
	s_mul_i32 s19, s25, s19
	;; [unrolled: 1-line block ×3, first 2 shown]
	v_add_nc_u32_e32 v81, s26, v79
	s_ashr_i32 s27, s19, 31
	s_add_u32 s10, s10, s24
	s_addc_u32 s11, s11, s50
	s_add_u32 s24, s10, s19
	v_add_nc_u32_e32 v83, s26, v81
	s_addc_u32 s27, s11, s27
	s_add_i32 s10, s51, s41
	s_mul_i32 s38, s38, s33
	s_ashr_i32 s11, s25, 31
	v_add_nc_u32_e32 v84, s26, v83
	s_add_i32 s10, s10, s39
	s_add_u32 s12, s12, s38
	s_addc_u32 s10, s13, s10
	s_add_u32 s12, s12, s25
	v_add_nc_u32_e32 v85, s26, v84
	s_addc_u32 s13, s10, s11
	s_sub_i32 s10, s40, s46
	v_cndmask_b32_e32 v19, v66, v19, vcc_lo
	s_sub_i32 s11, s10, s35
	v_add_nc_u32_e32 v88, s26, v85
	s_cmp_ge_u32 s10, s35
	v_cmp_gt_i32_e32 vcc_lo, 32, v28
	s_cselect_b32 s10, s11, s10
	v_lshlrev_b32_e32 v74, 1, v18
	v_add_nc_u32_e32 v93, s26, v88
	s_sub_i32 s11, s10, s35
	s_cmp_ge_u32 s10, s35
	v_cndmask_b32_e32 v20, v66, v28, vcc_lo
	s_cselect_b32 s10, s11, s10
	v_add_nc_u32_e32 v94, s26, v93
	s_xor_b32 s10, s10, s8
	v_cmp_gt_i32_e32 vcc_lo, 32, v29
	s_sub_i32 s8, s10, s8
	v_add_nc_u32_e32 v18, 2, v27
	v_add_nc_u32_e32 v95, s26, v94
	s_ashr_i32 s10, s8, 31
	s_mul_hi_u32 s11, s36, s8
	s_mul_i32 s10, s36, s10
	v_cndmask_b32_e32 v27, v66, v29, vcc_lo
	v_add_nc_u32_e32 v96, s26, v95
	v_cmp_gt_i32_e32 vcc_lo, 32, v30
	s_mul_i32 s35, s37, s8
	s_add_i32 s10, s11, s10
	s_mul_i32 s8, s36, s8
	v_add_nc_u32_e32 v97, s26, v96
	s_add_i32 s10, s10, s35
	s_add_u32 s8, s14, s8
	s_mov_b32 s3, s9
	s_addc_u32 s10, s15, s10
	v_add_nc_u32_e32 v98, s26, v97
	s_ashr_i32 s11, s44, 31
	v_cndmask_b32_e32 v28, v66, v30, vcc_lo
	v_cmp_lt_i32_e32 vcc_lo, v21, v18
	s_add_u32 s8, s8, s44
	v_add_nc_u32_e32 v99, s26, v98
	s_addc_u32 s35, s10, s11
	s_lshl_b64 s[10:11], s[2:3], 1
	v_mul_lo_u32 v104, v82, s18
	s_mul_i32 s19, s26, s2
	v_add_nc_u32_e32 v100, s26, v99
	s_add_u32 s10, s8, s10
	s_addc_u32 s11, s35, s11
	v_add_nc_u32_e32 v31, 0x80, v70
	v_cndmask_b32_e32 v18, v66, v21, vcc_lo
	v_add_nc_u32_e32 v101, s26, v100
	s_mul_i32 s25, s18, s2
	s_add_u32 s3, s12, s19
	s_addc_u32 s19, s13, 0
	s_add_u32 s24, s24, s25
	v_add_nc_u32_e32 v103, s26, v101
	s_addc_u32 s25, s27, 0
	s_cmp_lg_u64 s[14:15], 0
	v_mov_b32_e32 v24, 0
	v_bfe_u32 v77, v0, 3, 27
	v_add_nc_u32_e32 v105, s26, v103
	v_and_b32_e32 v78, 28, v70
	v_mov_b32_e32 v26, 0xfeffffff
	v_mov_b32_e32 v80, 0x10001
	;; [unrolled: 1-line block ×3, first 2 shown]
	v_add_nc_u32_e32 v106, s26, v105
	v_mov_b32_e32 v22, 0
	v_mov_b32_e32 v23, 0
	v_lshrrev_b32_e32 v86, 5, v31
	v_and_b32_e32 v87, 28, v31
	v_add_nc_u32_e32 v109, s26, v106
	v_lshlrev_b32_e32 v89, 2, v19
	v_lshlrev_b32_e32 v90, 2, v20
	;; [unrolled: 1-line block ×4, first 2 shown]
	v_add_nc_u32_e32 v110, s26, v109
	v_lshlrev_b32_e32 v102, 2, v18
	v_add_nc_u32_e32 v107, s18, v104
	v_ashrrev_i32_e32 v108, 31, v85
	v_ashrrev_i32_e32 v111, 31, v88
	v_add_nc_u32_e32 v112, s26, v110
	v_ashrrev_i32_e32 v114, 31, v93
	v_ashrrev_i32_e32 v115, 31, v94
	v_ashrrev_i32_e32 v118, 31, v95
	v_ashrrev_i32_e32 v120, 31, v96
	v_add_nc_u32_e32 v113, s26, v112
	v_ashrrev_i32_e32 v121, 31, v97
	v_ashrrev_i32_e32 v122, 31, v98
	;; [unrolled: 5-line block ×5, first 2 shown]
	v_mov_b32_e32 v75, 0
	s_cselect_b32 s14, -1, 0
	v_add_nc_u32_e32 v123, s26, v119
	v_ashrrev_i32_e32 v139, 31, v119
	s_lshl_b32 s8, s48, 7
	s_mul_i32 s15, s8, s18
	v_add_nc_u32_e32 v128, s26, v123
	v_ashrrev_i32_e32 v140, 31, v123
	s_mul_i32 s18, s8, s26
	s_lshl_b64 s[12:13], s[8:9], 1
	v_add_nc_u32_e32 v133, s26, v128
	v_ashrrev_i32_e32 v141, 31, v128
	v_add_nc_u32_e32 v138, s26, v133
	v_ashrrev_i32_e32 v142, 31, v133
	v_ashrrev_i32_e32 v143, 31, v138
.LBB23_15:                              ; =>This Inner Loop Header: Depth=1
	v_ashrrev_i32_e32 v19, 31, v104
	v_add_co_u32 v18, vcc_lo, s24, v104
	v_mov_b32_e32 v29, 0
	v_mov_b32_e32 v32, 0
	v_add_co_ci_u32_e64 v19, null, s25, v19, vcc_lo
	v_add_co_u32 v20, vcc_lo, v18, v71
	v_mov_b32_e32 v33, 0
	v_add_co_ci_u32_e64 v21, null, 0, v19, vcc_lo
	s_and_b32 vcc_lo, exec_lo, s14
	s_clause 0x1
	global_load_dword v27, v[20:21], off offset:2
	global_load_dword v30, v[20:21], off offset:10
	s_waitcnt vmcnt(1)
	v_and_b32_e32 v28, 0xf0f0f0f, v27
	v_lshrrev_b32_e32 v27, 4, v27
	s_waitcnt vmcnt(0)
	v_and_b32_e32 v31, 0xf0f0f0f, v30
	v_dot4c_i32_i8 v29, v28, v34
	global_load_ushort v28, v[18:19], off
	v_and_b32_e32 v27, 0xf0f0f0f, v27
	v_dot4c_i32_i8 v32, v31, v35
	v_cvt_f32_i32_e32 v29, v29
	v_cvt_f32_i32_e32 v31, v32
	v_mov_b32_e32 v32, 0
	v_fma_f32 v29, v2, v29, -v3
	v_fma_f32 v31, v2, v31, -v3
	s_waitcnt vmcnt(0)
	v_fma_mix_f32 v29, v29, v28, 0 op_sel_hi:[0,1,0]
	v_fma_mix_f32 v29, v31, v28, v29 op_sel_hi:[0,1,0]
	v_mov_b32_e32 v31, 0
	v_dot4c_i32_i8 v31, v27, v36
	v_cvt_f32_i32_e32 v27, v31
	v_fma_f32 v27, v2, v27, -v3
	v_fma_mix_f32 v27, v27, v28, v29 op_sel_hi:[0,1,0]
	v_lshrrev_b32_e32 v29, 4, v30
	v_mov_b32_e32 v30, 0
	v_and_b32_e32 v29, 0xf0f0f0f, v29
	v_dot4c_i32_i8 v30, v29, v37
	v_cvt_f32_i32_e32 v29, v30
	v_mov_b32_e32 v30, 0
	v_fma_f32 v29, v2, v29, -v3
	v_fma_mix_f32 v27, v29, v28, v27 op_sel_hi:[0,1,0]
	global_load_dword v28, v[20:21], off offset:20
	s_waitcnt vmcnt(0)
	v_and_b32_e32 v29, 0xf0f0f0f, v28
	v_lshrrev_b32_e32 v28, 4, v28
	v_dot4c_i32_i8 v30, v29, v38
	global_load_ushort v29, v[18:19], off offset:18
	v_and_b32_e32 v28, 0xf0f0f0f, v28
	v_cvt_f32_i32_e32 v30, v30
	v_fma_f32 v30, v4, v30, -v5
	s_waitcnt vmcnt(0)
	v_fma_mix_f32 v27, v30, v29, v27 op_sel_hi:[0,1,0]
	global_load_dword v30, v[20:21], off offset:28
	s_waitcnt vmcnt(0)
	v_and_b32_e32 v31, 0xf0f0f0f, v30
	v_dot4c_i32_i8 v32, v31, v39
	v_cvt_f32_i32_e32 v31, v32
	v_mov_b32_e32 v32, 0
	v_fma_f32 v31, v4, v31, -v5
	v_fma_mix_f32 v27, v31, v29, v27 op_sel_hi:[0,1,0]
	v_mov_b32_e32 v31, 0
	v_dot4c_i32_i8 v31, v28, v40
	v_cvt_f32_i32_e32 v28, v31
	v_fma_f32 v28, v4, v28, -v5
	v_fma_mix_f32 v27, v28, v29, v27 op_sel_hi:[0,1,0]
	v_lshrrev_b32_e32 v28, 4, v30
	v_mov_b32_e32 v30, 0
	v_and_b32_e32 v28, 0xf0f0f0f, v28
	v_dot4c_i32_i8 v30, v28, v41
	v_cvt_f32_i32_e32 v28, v30
	v_mov_b32_e32 v30, 0
	v_fma_f32 v28, v4, v28, -v5
	v_fma_mix_f32 v27, v28, v29, v27 op_sel_hi:[0,1,0]
	global_load_dword v28, v[20:21], off offset:38
	s_waitcnt vmcnt(0)
	v_and_b32_e32 v29, 0xf0f0f0f, v28
	v_lshrrev_b32_e32 v28, 4, v28
	v_dot4c_i32_i8 v30, v29, v42
	global_load_ushort v29, v[18:19], off offset:36
	v_and_b32_e32 v28, 0xf0f0f0f, v28
	v_cvt_f32_i32_e32 v30, v30
	v_fma_f32 v30, v6, v30, -v7
	s_waitcnt vmcnt(0)
	v_fma_mix_f32 v27, v30, v29, v27 op_sel_hi:[0,1,0]
	global_load_dword v30, v[20:21], off offset:46
	s_waitcnt vmcnt(0)
	v_and_b32_e32 v31, 0xf0f0f0f, v30
	v_dot4c_i32_i8 v32, v31, v43
	v_cvt_f32_i32_e32 v31, v32
	v_mov_b32_e32 v32, 0
	v_fma_f32 v31, v6, v31, -v7
	v_fma_mix_f32 v27, v31, v29, v27 op_sel_hi:[0,1,0]
	v_mov_b32_e32 v31, 0
	v_dot4c_i32_i8 v31, v28, v44
	v_cvt_f32_i32_e32 v28, v31
	v_fma_f32 v28, v6, v28, -v7
	v_fma_mix_f32 v27, v28, v29, v27 op_sel_hi:[0,1,0]
	v_lshrrev_b32_e32 v28, 4, v30
	v_mov_b32_e32 v30, 0
	v_and_b32_e32 v28, 0xf0f0f0f, v28
	v_dot4c_i32_i8 v30, v28, v45
	v_cvt_f32_i32_e32 v28, v30
	v_mov_b32_e32 v30, 0
	v_fma_f32 v28, v6, v28, -v7
	v_fma_mix_f32 v27, v28, v29, v27 op_sel_hi:[0,1,0]
	global_load_dword v28, v[20:21], off offset:56
	s_waitcnt vmcnt(0)
	v_and_b32_e32 v29, 0xf0f0f0f, v28
	v_lshrrev_b32_e32 v28, 4, v28
	v_dot4c_i32_i8 v30, v29, v46
	global_load_ushort v29, v[18:19], off offset:54
	v_and_b32_e32 v28, 0xf0f0f0f, v28
	v_cvt_f32_i32_e32 v30, v30
	v_fma_f32 v30, v8, v30, -v9
	s_waitcnt vmcnt(0)
	v_fma_mix_f32 v27, v30, v29, v27 op_sel_hi:[0,1,0]
	global_load_dword v30, v[20:21], off offset:64
	s_waitcnt vmcnt(0)
	v_and_b32_e32 v31, 0xf0f0f0f, v30
	v_dot4c_i32_i8 v32, v31, v47
	v_cvt_f32_i32_e32 v31, v32
	v_mov_b32_e32 v32, 0
	v_fma_f32 v31, v8, v31, -v9
	v_fma_mix_f32 v27, v31, v29, v27 op_sel_hi:[0,1,0]
	v_mov_b32_e32 v31, 0
	v_dot4c_i32_i8 v31, v28, v48
	v_cvt_f32_i32_e32 v28, v31
	v_fma_f32 v28, v8, v28, -v9
	v_fma_mix_f32 v27, v28, v29, v27 op_sel_hi:[0,1,0]
	v_lshrrev_b32_e32 v28, 4, v30
	v_mov_b32_e32 v30, 0
	v_and_b32_e32 v28, 0xf0f0f0f, v28
	v_dot4c_i32_i8 v30, v28, v49
	v_cvt_f32_i32_e32 v28, v30
	v_mov_b32_e32 v30, 0
	v_fma_f32 v28, v8, v28, -v9
	v_fma_mix_f32 v27, v28, v29, v27 op_sel_hi:[0,1,0]
	global_load_dword v28, v[20:21], off offset:74
	s_waitcnt vmcnt(0)
	v_and_b32_e32 v29, 0xf0f0f0f, v28
	v_lshrrev_b32_e32 v28, 4, v28
	v_dot4c_i32_i8 v30, v29, v50
	global_load_ushort v29, v[18:19], off offset:72
	v_and_b32_e32 v28, 0xf0f0f0f, v28
	v_cvt_f32_i32_e32 v30, v30
	v_fma_f32 v30, v10, v30, -v11
	s_waitcnt vmcnt(0)
	v_fma_mix_f32 v27, v30, v29, v27 op_sel_hi:[0,1,0]
	global_load_dword v30, v[20:21], off offset:82
	s_waitcnt vmcnt(0)
	v_and_b32_e32 v31, 0xf0f0f0f, v30
	v_dot4c_i32_i8 v32, v31, v51
	v_cvt_f32_i32_e32 v31, v32
	v_fma_f32 v31, v10, v31, -v11
	v_fma_mix_f32 v27, v31, v29, v27 op_sel_hi:[0,1,0]
	v_mov_b32_e32 v31, 0
	v_dot4c_i32_i8 v31, v28, v52
	v_cvt_f32_i32_e32 v28, v31
	v_fma_f32 v28, v10, v28, -v11
	v_fma_mix_f32 v27, v28, v29, v27 op_sel_hi:[0,1,0]
	v_lshrrev_b32_e32 v28, 4, v30
	v_mov_b32_e32 v30, 0
	v_and_b32_e32 v28, 0xf0f0f0f, v28
	v_dot4c_i32_i8 v30, v28, v53
	v_cvt_f32_i32_e32 v28, v30
	v_mov_b32_e32 v30, 0
	v_fma_f32 v28, v10, v28, -v11
	v_fma_mix_f32 v27, v28, v29, v27 op_sel_hi:[0,1,0]
	global_load_dword v28, v[20:21], off offset:92
	s_waitcnt vmcnt(0)
	v_and_b32_e32 v29, 0xf0f0f0f, v28
	v_lshrrev_b32_e32 v28, 4, v28
	v_dot4c_i32_i8 v30, v29, v54
	s_clause 0x1
	global_load_ushort v29, v[18:19], off offset:90
	global_load_dword v31, v[20:21], off offset:100
	v_and_b32_e32 v28, 0xf0f0f0f, v28
	v_cvt_f32_i32_e32 v30, v30
	v_fma_f32 v30, v12, v30, -v13
	s_waitcnt vmcnt(1)
	v_fma_mix_f32 v27, v30, v29, v27 op_sel_hi:[0,1,0]
	s_waitcnt vmcnt(0)
	v_and_b32_e32 v32, 0xf0f0f0f, v31
	v_mov_b32_e32 v30, 0
	v_dot4c_i32_i8 v33, v32, v55
	v_dot4c_i32_i8 v30, v28, v56
	v_lshrrev_b32_e32 v28, 4, v31
	v_mov_b32_e32 v31, 0
	v_cvt_f32_i32_e32 v32, v33
	v_mov_b32_e32 v33, 0
	v_and_b32_e32 v28, 0xf0f0f0f, v28
	v_fma_f32 v32, v12, v32, -v13
	v_dot4c_i32_i8 v31, v28, v57
	v_cvt_f32_i32_e32 v28, v30
	v_fma_mix_f32 v27, v32, v29, v27 op_sel_hi:[0,1,0]
	v_cvt_f32_i32_e32 v30, v31
	v_fma_f32 v28, v12, v28, -v13
	v_fma_f32 v30, v12, v30, -v13
	v_fma_mix_f32 v27, v28, v29, v27 op_sel_hi:[0,1,0]
	global_load_dword v28, v[20:21], off offset:110
	v_fma_mix_f32 v27, v30, v29, v27 op_sel_hi:[0,1,0]
	v_mov_b32_e32 v30, 0
	s_waitcnt vmcnt(0)
	v_and_b32_e32 v29, 0xf0f0f0f, v28
	v_lshrrev_b32_e32 v28, 4, v28
	v_dot4c_i32_i8 v30, v29, v58
	s_clause 0x1
	global_load_ushort v29, v[18:19], off offset:108
	global_load_dword v31, v[20:21], off offset:118
	v_and_b32_e32 v28, 0xf0f0f0f, v28
	v_cvt_f32_i32_e32 v30, v30
	v_fma_f32 v30, v14, v30, -v15
	s_waitcnt vmcnt(1)
	v_fma_mix_f32 v27, v30, v29, v27 op_sel_hi:[0,1,0]
	s_waitcnt vmcnt(0)
	v_and_b32_e32 v32, 0xf0f0f0f, v31
	v_mov_b32_e32 v30, 0
	v_dot4c_i32_i8 v33, v32, v59
	v_dot4c_i32_i8 v30, v28, v60
	v_lshrrev_b32_e32 v28, 4, v31
	v_mov_b32_e32 v31, 0
	v_cvt_f32_i32_e32 v32, v33
	v_and_b32_e32 v28, 0xf0f0f0f, v28
	v_fma_f32 v32, v14, v32, -v15
	v_dot4c_i32_i8 v31, v28, v61
	v_cvt_f32_i32_e32 v28, v30
	v_fma_mix_f32 v27, v32, v29, v27 op_sel_hi:[0,1,0]
	v_cvt_f32_i32_e32 v30, v31
	v_fma_f32 v28, v14, v28, -v15
	v_fma_f32 v30, v14, v30, -v15
	v_fma_mix_f32 v27, v28, v29, v27 op_sel_hi:[0,1,0]
	s_clause 0x2
	global_load_dword v28, v[20:21], off offset:128
	global_load_ushort v18, v[18:19], off offset:126
	global_load_dword v19, v[20:21], off offset:136
	v_mov_b32_e32 v21, 0
	v_fma_mix_f32 v27, v30, v29, v27 op_sel_hi:[0,1,0]
	v_mov_b32_e32 v30, 0
	s_waitcnt vmcnt(2)
	v_and_b32_e32 v29, 0xf0f0f0f, v28
	s_waitcnt vmcnt(0)
	v_and_b32_e32 v20, 0xf0f0f0f, v19
	v_lshrrev_b32_e32 v19, 4, v19
	v_dot4c_i32_i8 v30, v29, v62
	v_dot4c_i32_i8 v21, v20, v63
	v_and_b32_e32 v19, 0xf0f0f0f, v19
	v_cvt_f32_i32_e32 v20, v30
	v_cvt_f32_i32_e32 v21, v21
	v_fma_f32 v20, v16, v20, -v17
	v_fma_f32 v21, v16, v21, -v17
	v_fma_mix_f32 v20, v20, v18, v27 op_sel_hi:[0,1,0]
	v_mov_b32_e32 v27, 0
	v_fma_mix_f32 v20, v21, v18, v20 op_sel_hi:[0,1,0]
	v_lshrrev_b32_e32 v21, 4, v28
	v_lshlrev_b32_e32 v28, 1, v82
	v_and_b32_e32 v21, 0xf0f0f0f, v21
	v_dot4c_i32_i8 v27, v21, v64
	v_mov_b32_e32 v21, 0
	v_dot4c_i32_i8 v21, v19, v65
	v_cvt_f32_i32_e32 v19, v27
	v_cvt_f32_i32_e32 v21, v21
	v_fma_f32 v19, v16, v19, -v17
	v_fma_f32 v21, v16, v21, -v17
	v_fma_mix_f32 v19, v19, v18, v20 op_sel_hi:[0,1,0]
	v_fma_mix_f32 v18, v21, v18, v19 op_sel_hi:[0,1,0]
	ds_bpermute_b32 v19, v102, v18
	s_waitcnt lgkmcnt(0)
	v_add_f32_e32 v27, v18, v19
	s_cbranch_vccz .LBB23_17
; %bb.16:                               ;   in Loop: Header=BB23_15 Depth=1
	global_load_ushort v18, v28, s[10:11]
	s_waitcnt vmcnt(0)
	v_fma_mix_f32 v27, v67, v18, v27 op_sel_hi:[0,1,0]
.LBB23_17:                              ;   in Loop: Header=BB23_15 Depth=1
	v_ashrrev_i32_e32 v18, 31, v107
	v_add_co_u32 v20, vcc_lo, s24, v107
	v_mov_b32_e32 v31, 0
	v_mov_b32_e32 v144, 0
	v_add_co_ci_u32_e64 v21, null, s25, v18, vcc_lo
	v_add_co_u32 v18, vcc_lo, v20, v71
	v_mov_b32_e32 v145, 0
	v_add_co_ci_u32_e64 v19, null, 0, v21, vcc_lo
	s_andn2_b32 vcc_lo, exec_lo, s14
	s_clause 0x1
	global_load_dword v29, v[18:19], off offset:2
	global_load_dword v32, v[18:19], off offset:10
	s_waitcnt vmcnt(1)
	v_and_b32_e32 v30, 0xf0f0f0f, v29
	s_waitcnt vmcnt(0)
	v_and_b32_e32 v33, 0xf0f0f0f, v32
	v_lshrrev_b32_e32 v29, 4, v29
	v_dot4c_i32_i8 v31, v30, v34
	global_load_ushort v30, v[20:21], off
	v_dot4c_i32_i8 v144, v33, v35
	v_and_b32_e32 v29, 0xf0f0f0f, v29
	v_cvt_f32_i32_e32 v31, v31
	v_cvt_f32_i32_e32 v33, v144
	v_mov_b32_e32 v144, 0
	v_fma_f32 v31, v2, v31, -v3
	v_fma_f32 v33, v2, v33, -v3
	s_waitcnt vmcnt(0)
	v_fma_mix_f32 v31, v31, v30, 0 op_sel_hi:[0,1,0]
	v_fma_mix_f32 v31, v33, v30, v31 op_sel_hi:[0,1,0]
	v_mov_b32_e32 v33, 0
	v_dot4c_i32_i8 v33, v29, v36
	v_cvt_f32_i32_e32 v29, v33
	v_fma_f32 v29, v2, v29, -v3
	v_fma_mix_f32 v29, v29, v30, v31 op_sel_hi:[0,1,0]
	v_lshrrev_b32_e32 v31, 4, v32
	v_mov_b32_e32 v32, 0
	v_and_b32_e32 v31, 0xf0f0f0f, v31
	v_dot4c_i32_i8 v32, v31, v37
	v_cvt_f32_i32_e32 v31, v32
	v_mov_b32_e32 v32, 0
	v_fma_f32 v31, v2, v31, -v3
	v_fma_mix_f32 v29, v31, v30, v29 op_sel_hi:[0,1,0]
	global_load_dword v30, v[18:19], off offset:20
	s_waitcnt vmcnt(0)
	v_and_b32_e32 v31, 0xf0f0f0f, v30
	v_lshrrev_b32_e32 v30, 4, v30
	v_dot4c_i32_i8 v32, v31, v38
	global_load_ushort v31, v[20:21], off offset:18
	v_and_b32_e32 v30, 0xf0f0f0f, v30
	v_cvt_f32_i32_e32 v32, v32
	v_fma_f32 v32, v4, v32, -v5
	s_waitcnt vmcnt(0)
	v_fma_mix_f32 v29, v32, v31, v29 op_sel_hi:[0,1,0]
	global_load_dword v32, v[18:19], off offset:28
	s_waitcnt vmcnt(0)
	v_and_b32_e32 v33, 0xf0f0f0f, v32
	v_dot4c_i32_i8 v144, v33, v39
	v_cvt_f32_i32_e32 v33, v144
	v_mov_b32_e32 v144, 0
	v_fma_f32 v33, v4, v33, -v5
	v_fma_mix_f32 v29, v33, v31, v29 op_sel_hi:[0,1,0]
	v_mov_b32_e32 v33, 0
	v_dot4c_i32_i8 v33, v30, v40
	v_cvt_f32_i32_e32 v30, v33
	v_fma_f32 v30, v4, v30, -v5
	v_fma_mix_f32 v29, v30, v31, v29 op_sel_hi:[0,1,0]
	v_lshrrev_b32_e32 v30, 4, v32
	v_mov_b32_e32 v32, 0
	v_and_b32_e32 v30, 0xf0f0f0f, v30
	v_dot4c_i32_i8 v32, v30, v41
	v_cvt_f32_i32_e32 v30, v32
	v_mov_b32_e32 v32, 0
	v_fma_f32 v30, v4, v30, -v5
	v_fma_mix_f32 v29, v30, v31, v29 op_sel_hi:[0,1,0]
	global_load_dword v30, v[18:19], off offset:38
	s_waitcnt vmcnt(0)
	v_and_b32_e32 v31, 0xf0f0f0f, v30
	v_lshrrev_b32_e32 v30, 4, v30
	v_dot4c_i32_i8 v32, v31, v42
	global_load_ushort v31, v[20:21], off offset:36
	v_and_b32_e32 v30, 0xf0f0f0f, v30
	v_cvt_f32_i32_e32 v32, v32
	v_fma_f32 v32, v6, v32, -v7
	s_waitcnt vmcnt(0)
	v_fma_mix_f32 v29, v32, v31, v29 op_sel_hi:[0,1,0]
	global_load_dword v32, v[18:19], off offset:46
	s_waitcnt vmcnt(0)
	v_and_b32_e32 v33, 0xf0f0f0f, v32
	v_dot4c_i32_i8 v144, v33, v43
	v_cvt_f32_i32_e32 v33, v144
	v_mov_b32_e32 v144, 0
	v_fma_f32 v33, v6, v33, -v7
	;; [unrolled: 32-line block ×3, first 2 shown]
	v_fma_mix_f32 v29, v33, v31, v29 op_sel_hi:[0,1,0]
	v_mov_b32_e32 v33, 0
	v_dot4c_i32_i8 v33, v30, v48
	v_cvt_f32_i32_e32 v30, v33
	v_fma_f32 v30, v8, v30, -v9
	v_fma_mix_f32 v29, v30, v31, v29 op_sel_hi:[0,1,0]
	v_lshrrev_b32_e32 v30, 4, v32
	v_mov_b32_e32 v32, 0
	v_and_b32_e32 v30, 0xf0f0f0f, v30
	v_dot4c_i32_i8 v32, v30, v49
	v_cvt_f32_i32_e32 v30, v32
	v_mov_b32_e32 v32, 0
	v_fma_f32 v30, v8, v30, -v9
	v_fma_mix_f32 v29, v30, v31, v29 op_sel_hi:[0,1,0]
	global_load_dword v30, v[18:19], off offset:74
	s_waitcnt vmcnt(0)
	v_and_b32_e32 v31, 0xf0f0f0f, v30
	v_lshrrev_b32_e32 v30, 4, v30
	v_dot4c_i32_i8 v32, v31, v50
	global_load_ushort v31, v[20:21], off offset:72
	v_and_b32_e32 v30, 0xf0f0f0f, v30
	v_cvt_f32_i32_e32 v32, v32
	v_fma_f32 v32, v10, v32, -v11
	s_waitcnt vmcnt(0)
	v_fma_mix_f32 v29, v32, v31, v29 op_sel_hi:[0,1,0]
	global_load_dword v32, v[18:19], off offset:82
	s_waitcnt vmcnt(0)
	v_and_b32_e32 v33, 0xf0f0f0f, v32
	v_dot4c_i32_i8 v144, v33, v51
	v_cvt_f32_i32_e32 v33, v144
	v_fma_f32 v33, v10, v33, -v11
	v_fma_mix_f32 v29, v33, v31, v29 op_sel_hi:[0,1,0]
	v_mov_b32_e32 v33, 0
	v_dot4c_i32_i8 v33, v30, v52
	v_cvt_f32_i32_e32 v30, v33
	v_fma_f32 v30, v10, v30, -v11
	v_fma_mix_f32 v29, v30, v31, v29 op_sel_hi:[0,1,0]
	v_lshrrev_b32_e32 v30, 4, v32
	v_mov_b32_e32 v32, 0
	v_and_b32_e32 v30, 0xf0f0f0f, v30
	v_dot4c_i32_i8 v32, v30, v53
	v_cvt_f32_i32_e32 v30, v32
	v_mov_b32_e32 v32, 0
	v_fma_f32 v30, v10, v30, -v11
	v_fma_mix_f32 v29, v30, v31, v29 op_sel_hi:[0,1,0]
	global_load_dword v30, v[18:19], off offset:92
	s_waitcnt vmcnt(0)
	v_and_b32_e32 v31, 0xf0f0f0f, v30
	v_lshrrev_b32_e32 v30, 4, v30
	v_dot4c_i32_i8 v32, v31, v54
	s_clause 0x1
	global_load_ushort v31, v[20:21], off offset:90
	global_load_dword v33, v[18:19], off offset:100
	v_and_b32_e32 v30, 0xf0f0f0f, v30
	v_cvt_f32_i32_e32 v32, v32
	v_fma_f32 v32, v12, v32, -v13
	s_waitcnt vmcnt(1)
	v_fma_mix_f32 v29, v32, v31, v29 op_sel_hi:[0,1,0]
	s_waitcnt vmcnt(0)
	v_and_b32_e32 v144, 0xf0f0f0f, v33
	v_mov_b32_e32 v32, 0
	v_dot4c_i32_i8 v145, v144, v55
	v_dot4c_i32_i8 v32, v30, v56
	v_lshrrev_b32_e32 v30, 4, v33
	v_mov_b32_e32 v33, 0
	v_cvt_f32_i32_e32 v144, v145
	v_mov_b32_e32 v145, 0
	v_and_b32_e32 v30, 0xf0f0f0f, v30
	v_fma_f32 v144, v12, v144, -v13
	v_dot4c_i32_i8 v33, v30, v57
	v_cvt_f32_i32_e32 v30, v32
	v_fma_mix_f32 v29, v144, v31, v29 op_sel_hi:[0,1,0]
	v_cvt_f32_i32_e32 v32, v33
	v_fma_f32 v30, v12, v30, -v13
	v_fma_f32 v32, v12, v32, -v13
	v_fma_mix_f32 v29, v30, v31, v29 op_sel_hi:[0,1,0]
	global_load_dword v30, v[18:19], off offset:110
	v_fma_mix_f32 v29, v32, v31, v29 op_sel_hi:[0,1,0]
	v_mov_b32_e32 v32, 0
	s_waitcnt vmcnt(0)
	v_and_b32_e32 v31, 0xf0f0f0f, v30
	v_lshrrev_b32_e32 v30, 4, v30
	v_dot4c_i32_i8 v32, v31, v58
	s_clause 0x1
	global_load_ushort v31, v[20:21], off offset:108
	global_load_dword v33, v[18:19], off offset:118
	v_and_b32_e32 v30, 0xf0f0f0f, v30
	v_cvt_f32_i32_e32 v32, v32
	v_fma_f32 v32, v14, v32, -v15
	s_waitcnt vmcnt(1)
	v_fma_mix_f32 v29, v32, v31, v29 op_sel_hi:[0,1,0]
	s_waitcnt vmcnt(0)
	v_and_b32_e32 v144, 0xf0f0f0f, v33
	v_mov_b32_e32 v32, 0
	v_dot4c_i32_i8 v145, v144, v59
	v_dot4c_i32_i8 v32, v30, v60
	v_lshrrev_b32_e32 v30, 4, v33
	v_mov_b32_e32 v33, 0
	v_cvt_f32_i32_e32 v144, v145
	v_and_b32_e32 v30, 0xf0f0f0f, v30
	v_fma_f32 v144, v14, v144, -v15
	v_dot4c_i32_i8 v33, v30, v61
	v_cvt_f32_i32_e32 v30, v32
	v_fma_mix_f32 v29, v144, v31, v29 op_sel_hi:[0,1,0]
	v_cvt_f32_i32_e32 v32, v33
	v_fma_f32 v30, v14, v30, -v15
	v_fma_f32 v32, v14, v32, -v15
	v_fma_mix_f32 v29, v30, v31, v29 op_sel_hi:[0,1,0]
	s_clause 0x2
	global_load_dword v30, v[18:19], off offset:128
	global_load_ushort v20, v[20:21], off offset:126
	global_load_dword v18, v[18:19], off offset:136
	v_mov_b32_e32 v21, 0
	v_fma_mix_f32 v29, v32, v31, v29 op_sel_hi:[0,1,0]
	v_mov_b32_e32 v32, 0
	s_waitcnt vmcnt(2)
	v_and_b32_e32 v31, 0xf0f0f0f, v30
	s_waitcnt vmcnt(0)
	v_and_b32_e32 v19, 0xf0f0f0f, v18
	v_lshrrev_b32_e32 v18, 4, v18
	v_dot4c_i32_i8 v32, v31, v62
	v_dot4c_i32_i8 v21, v19, v63
	v_and_b32_e32 v18, 0xf0f0f0f, v18
	v_cvt_f32_i32_e32 v19, v32
	v_cvt_f32_i32_e32 v21, v21
	v_fma_f32 v19, v16, v19, -v17
	v_fma_f32 v21, v16, v21, -v17
	v_fma_mix_f32 v19, v19, v20, v29 op_sel_hi:[0,1,0]
	v_mov_b32_e32 v29, 0
	v_fma_mix_f32 v19, v21, v20, v19 op_sel_hi:[0,1,0]
	v_lshrrev_b32_e32 v21, 4, v30
	v_and_b32_e32 v21, 0xf0f0f0f, v21
	v_dot4c_i32_i8 v29, v21, v64
	v_mov_b32_e32 v21, 0
	v_dot4c_i32_i8 v21, v18, v65
	v_cvt_f32_i32_e32 v18, v29
	v_cvt_f32_i32_e32 v21, v21
	v_fma_f32 v18, v16, v18, -v17
	v_fma_f32 v21, v16, v21, -v17
	v_fma_mix_f32 v18, v18, v20, v19 op_sel_hi:[0,1,0]
	v_fma_mix_f32 v18, v21, v20, v18 op_sel_hi:[0,1,0]
	ds_bpermute_b32 v19, v102, v18
	s_waitcnt lgkmcnt(0)
	v_add_f32_e32 v18, v18, v19
	s_cbranch_vccnz .LBB23_19
; %bb.18:                               ;   in Loop: Header=BB23_15 Depth=1
	global_load_ushort v19, v28, s[10:11] offset:2
	s_waitcnt vmcnt(0)
	v_fma_mix_f32 v18, v67, v19, v18 op_sel_hi:[0,1,0]
.LBB23_19:                              ;   in Loop: Header=BB23_15 Depth=1
	v_add_f32_e32 v19, 0x40051340, v27
	v_add_f32_e32 v20, 0x40051340, v18
	v_cndmask_b32_e64 v18, v18, v27, s1
	v_ashrrev_i32_e32 v145, 31, v72
	v_mul_u32_u24_e32 v147, 34, v77
	s_add_i32 s2, s8, s2
	v_max3_f32 v19, v26, v19, v20
	s_add_u32 s24, s24, s15
	s_addc_u32 s25, s25, 0
	ds_bpermute_b32 v20, v89, v19
	s_waitcnt lgkmcnt(0)
	v_max_f32_e32 v20, v20, v20
	v_max_f32_e32 v19, v19, v20
	ds_bpermute_b32 v20, v90, v19
	s_waitcnt lgkmcnt(0)
	v_max_f32_e32 v20, v20, v20
	v_max_f32_e32 v19, v19, v20
	;; [unrolled: 4-line block ×4, first 2 shown]
	v_sub_f32_e32 v19, v26, v144
	v_sub_f32_e32 v18, v18, v144
	v_mul_f32_e32 v20, 0x3fb8aa3b, v19
	v_cmp_ngt_f32_e32 vcc_lo, 0xc2ce8ed0, v19
	v_fma_f32 v21, 0x3fb8aa3b, v19, -v20
	v_rndne_f32_e32 v26, v20
	v_fmac_f32_e32 v21, 0x32a5705f, v19
	v_sub_f32_e32 v20, v20, v26
	v_add_f32_e32 v20, v20, v21
	v_cvt_i32_f32_e32 v21, v26
	v_exp_f32_e32 v20, v20
	v_ldexp_f32 v20, v20, v21
	v_cndmask_b32_e32 v20, 0, v20, vcc_lo
	v_cmp_nlt_f32_e32 vcc_lo, 0x42b17218, v19
	v_cndmask_b32_e32 v19, 0x7f800000, v20, vcc_lo
	v_mul_f32_e32 v20, 0x3fb8aa3b, v18
	v_cmp_ngt_f32_e32 vcc_lo, 0xc2ce8ed0, v18
	v_fma_f32 v21, 0x3fb8aa3b, v18, -v20
	v_rndne_f32_e32 v26, v20
	v_fmac_f32_e32 v21, 0x32a5705f, v18
	v_sub_f32_e32 v20, v20, v26
	v_add_f32_e32 v20, v20, v21
	v_cvt_i32_f32_e32 v21, v26
	v_exp_f32_e32 v20, v20
	v_ldexp_f32 v20, v20, v21
	v_cndmask_b32_e32 v20, 0, v20, vcc_lo
	v_cmp_nlt_f32_e32 vcc_lo, 0x42b17218, v18
	v_cndmask_b32_e32 v18, 0x7f800000, v20, vcc_lo
	v_add_co_u32 v156, vcc_lo, s3, v72
	v_add_co_ci_u32_e64 v157, null, s19, v145, vcc_lo
	v_mul_hi_u32_u24_e32 v145, 34, v77
	v_add_co_u32 v148, vcc_lo, v156, v147
	v_fma_f32 v75, v75, v19, v18
	v_cvt_f16_f32_e32 v19, v19
	v_add_co_ci_u32_e64 v149, null, v157, v145, vcc_lo
	v_add_co_u32 v150, vcc_lo, v148, v78
	v_cvt_f16_f32_e32 v18, v18
	v_mul_u32_u24_sdwa v19, v19, v80 dst_sel:DWORD dst_unused:UNUSED_PAD src0_sel:WORD_0 src1_sel:DWORD
	v_add_co_ci_u32_e64 v151, null, 0, v149, vcc_lo
	ds_write_b16 v69, v18
	v_pk_mul_f16 v146, v23, v19
	v_pk_mul_f16 v152, v22, v19
	;; [unrolled: 1-line block ×4, first 2 shown]
	ds_read_b128 v[30:33], v74
	ds_read_b128 v[26:29], v74 offset:16
	ds_read_b128 v[22:25], v74 offset:32
	;; [unrolled: 1-line block ×3, first 2 shown]
	s_clause 0x1
	global_load_ushort v148, v[148:149], off
	global_load_dword v149, v[150:151], off offset:2
	s_waitcnt lgkmcnt(3)
	v_mul_u32_u24_sdwa v155, v30, v80 dst_sel:DWORD dst_unused:UNUSED_PAD src0_sel:WORD_0 src1_sel:DWORD
	v_mul_u32_u24_sdwa v30, v30, v80 dst_sel:DWORD dst_unused:UNUSED_PAD src0_sel:WORD_1 src1_sel:DWORD
	s_waitcnt vmcnt(1)
	v_mul_u32_u24_e32 v148, 0x10001, v148
	s_waitcnt vmcnt(0)
	v_pk_lshrrev_b16 v150, 8, v149 op_sel:[1,0] op_sel_hi:[0,0]
	v_pk_lshrrev_b16 v149, 8, v149 op_sel:[1,1] op_sel_hi:[0,1]
	v_lshrrev_b32_e32 v151, 16, v150
	v_cvt_f16_i16_sdwa v150, sext(v150) dst_sel:DWORD dst_unused:UNUSED_PAD src0_sel:BYTE_0
	v_cvt_f16_i16_sdwa v151, sext(v151) dst_sel:DWORD dst_unused:UNUSED_PAD src0_sel:BYTE_0
	v_pack_b32_f16 v150, v150, v151
	v_lshrrev_b32_e32 v151, 16, v149
	v_cvt_f16_i16_sdwa v149, sext(v149) dst_sel:DWORD dst_unused:UNUSED_PAD src0_sel:BYTE_0
	v_pk_mul_f16 v150, v150, v148
	v_cvt_f16_i16_sdwa v151, sext(v151) dst_sel:DWORD dst_unused:UNUSED_PAD src0_sel:BYTE_0
	v_pk_fma_f16 v158, v150, v155, v146
	v_pack_b32_f16 v149, v149, v151
	v_mul_hi_u32_u24_e32 v146, 34, v86
	v_pk_mul_f16 v148, v149, v148
	v_pk_fma_f16 v159, v148, v155, v152
	v_mul_u32_u24_e32 v148, 34, v86
	v_add_co_u32 v149, vcc_lo, v156, v148
	v_add_co_ci_u32_e64 v150, null, v157, v146, vcc_lo
	v_add_co_u32 v151, vcc_lo, v149, v87
	v_add_co_ci_u32_e64 v152, null, 0, v150, vcc_lo
	s_clause 0x1
	global_load_ushort v149, v[149:150], off
	global_load_dword v150, v[151:152], off offset:2
	s_waitcnt vmcnt(1)
	v_mul_u32_u24_e32 v149, 0x10001, v149
	s_waitcnt vmcnt(0)
	v_pk_lshrrev_b16 v151, 8, v150 op_sel:[1,0] op_sel_hi:[0,0]
	v_pk_lshrrev_b16 v150, 8, v150 op_sel:[1,1] op_sel_hi:[0,1]
	v_lshrrev_b32_e32 v152, 16, v151
	v_cvt_f16_i16_sdwa v151, sext(v151) dst_sel:DWORD dst_unused:UNUSED_PAD src0_sel:BYTE_0
	v_cvt_f16_i16_sdwa v152, sext(v152) dst_sel:DWORD dst_unused:UNUSED_PAD src0_sel:BYTE_0
	v_pack_b32_f16 v151, v151, v152
	v_lshrrev_b32_e32 v152, 16, v150
	v_cvt_f16_i16_sdwa v150, sext(v150) dst_sel:DWORD dst_unused:UNUSED_PAD src0_sel:BYTE_0
	v_pk_mul_f16 v151, v151, v149
	v_cvt_f16_i16_sdwa v152, sext(v152) dst_sel:DWORD dst_unused:UNUSED_PAD src0_sel:BYTE_0
	v_pk_fma_f16 v153, v151, v155, v153
	v_pack_b32_f16 v150, v150, v152
	v_pk_mul_f16 v149, v150, v149
	v_pk_fma_f16 v154, v149, v155, v154
	v_ashrrev_i32_e32 v149, 31, v73
	v_add_co_u32 v155, vcc_lo, s3, v73
	v_add_co_ci_u32_e64 v156, null, s19, v149, vcc_lo
	v_add_co_u32 v149, vcc_lo, v155, v147
	v_add_co_ci_u32_e64 v150, null, v156, v145, vcc_lo
	v_add_co_u32 v151, vcc_lo, v149, v78
	v_add_co_ci_u32_e64 v152, null, 0, v150, vcc_lo
	s_clause 0x1
	global_load_ushort v149, v[149:150], off
	global_load_dword v150, v[151:152], off offset:2
	s_waitcnt vmcnt(1)
	v_mul_u32_u24_e32 v149, 0x10001, v149
	s_waitcnt vmcnt(0)
	v_pk_lshrrev_b16 v151, 8, v150 op_sel:[1,0] op_sel_hi:[0,0]
	v_pk_lshrrev_b16 v150, 8, v150 op_sel:[1,1] op_sel_hi:[0,1]
	v_lshrrev_b32_e32 v152, 16, v151
	v_cvt_f16_i16_sdwa v151, sext(v151) dst_sel:DWORD dst_unused:UNUSED_PAD src0_sel:BYTE_0
	v_cvt_f16_i16_sdwa v152, sext(v152) dst_sel:DWORD dst_unused:UNUSED_PAD src0_sel:BYTE_0
	v_pack_b32_f16 v151, v151, v152
	v_lshrrev_b32_e32 v152, 16, v150
	v_cvt_f16_i16_sdwa v150, sext(v150) dst_sel:DWORD dst_unused:UNUSED_PAD src0_sel:BYTE_0
	v_pk_mul_f16 v151, v151, v149
	v_cvt_f16_i16_sdwa v152, sext(v152) dst_sel:DWORD dst_unused:UNUSED_PAD src0_sel:BYTE_0
	v_pk_fma_f16 v157, v151, v30, v158
	v_pack_b32_f16 v150, v150, v152
	v_pk_mul_f16 v149, v150, v149
	v_pk_fma_f16 v158, v149, v30, v159
	v_add_co_u32 v149, vcc_lo, v155, v148
	v_add_co_ci_u32_e64 v150, null, v156, v146, vcc_lo
	v_add_co_u32 v151, vcc_lo, v149, v87
	v_add_co_ci_u32_e64 v152, null, 0, v150, vcc_lo
	global_load_ushort v149, v[149:150], off
	v_add_co_u32 v155, vcc_lo, s3, v76
	global_load_dword v150, v[151:152], off offset:2
	s_waitcnt vmcnt(1)
	v_mul_u32_u24_e32 v149, 0x10001, v149
	s_waitcnt vmcnt(0)
	v_pk_lshrrev_b16 v151, 8, v150 op_sel:[1,0] op_sel_hi:[0,0]
	v_pk_lshrrev_b16 v150, 8, v150 op_sel:[1,1] op_sel_hi:[0,1]
	v_lshrrev_b32_e32 v152, 16, v151
	v_cvt_f16_i16_sdwa v151, sext(v151) dst_sel:DWORD dst_unused:UNUSED_PAD src0_sel:BYTE_0
	v_cvt_f16_i16_sdwa v152, sext(v152) dst_sel:DWORD dst_unused:UNUSED_PAD src0_sel:BYTE_0
	v_pack_b32_f16 v151, v151, v152
	v_lshrrev_b32_e32 v152, 16, v150
	v_cvt_f16_i16_sdwa v150, sext(v150) dst_sel:DWORD dst_unused:UNUSED_PAD src0_sel:BYTE_0
	v_pk_mul_f16 v151, v151, v149
	v_cvt_f16_i16_sdwa v152, sext(v152) dst_sel:DWORD dst_unused:UNUSED_PAD src0_sel:BYTE_0
	v_pk_fma_f16 v153, v151, v30, v153
	v_pack_b32_f16 v150, v150, v152
	v_pk_mul_f16 v149, v150, v149
	v_pk_fma_f16 v30, v149, v30, v154
	v_ashrrev_i32_e32 v149, 31, v76
	v_mul_u32_u24_sdwa v154, v31, v80 dst_sel:DWORD dst_unused:UNUSED_PAD src0_sel:WORD_0 src1_sel:DWORD
	v_add_co_ci_u32_e64 v156, null, s19, v149, vcc_lo
	v_add_co_u32 v149, vcc_lo, v155, v147
	v_add_co_ci_u32_e64 v150, null, v156, v145, vcc_lo
	v_add_co_u32 v151, vcc_lo, v149, v78
	v_add_co_ci_u32_e64 v152, null, 0, v150, vcc_lo
	s_clause 0x1
	global_load_ushort v149, v[149:150], off
	global_load_dword v150, v[151:152], off offset:2
	s_waitcnt vmcnt(1)
	v_mul_u32_u24_e32 v149, 0x10001, v149
	s_waitcnt vmcnt(0)
	v_pk_lshrrev_b16 v151, 8, v150 op_sel:[1,0] op_sel_hi:[0,0]
	v_pk_lshrrev_b16 v150, 8, v150 op_sel:[1,1] op_sel_hi:[0,1]
	v_lshrrev_b32_e32 v152, 16, v151
	v_cvt_f16_i16_sdwa v151, sext(v151) dst_sel:DWORD dst_unused:UNUSED_PAD src0_sel:BYTE_0
	v_cvt_f16_i16_sdwa v152, sext(v152) dst_sel:DWORD dst_unused:UNUSED_PAD src0_sel:BYTE_0
	v_pack_b32_f16 v151, v151, v152
	v_lshrrev_b32_e32 v152, 16, v150
	v_cvt_f16_i16_sdwa v150, sext(v150) dst_sel:DWORD dst_unused:UNUSED_PAD src0_sel:BYTE_0
	v_pk_mul_f16 v151, v151, v149
	v_cvt_f16_i16_sdwa v152, sext(v152) dst_sel:DWORD dst_unused:UNUSED_PAD src0_sel:BYTE_0
	v_pk_fma_f16 v157, v151, v154, v157
	v_pack_b32_f16 v150, v150, v152
	v_pk_mul_f16 v149, v150, v149
	v_pk_fma_f16 v158, v149, v154, v158
	v_add_co_u32 v149, vcc_lo, v155, v148
	v_add_co_ci_u32_e64 v150, null, v156, v146, vcc_lo
	v_add_co_u32 v151, vcc_lo, v149, v87
	v_add_co_ci_u32_e64 v152, null, 0, v150, vcc_lo
	s_clause 0x1
	global_load_ushort v149, v[149:150], off
	global_load_dword v150, v[151:152], off offset:2
	s_waitcnt vmcnt(1)
	v_mul_u32_u24_e32 v149, 0x10001, v149
	s_waitcnt vmcnt(0)
	v_pk_lshrrev_b16 v151, 8, v150 op_sel:[1,0] op_sel_hi:[0,0]
	v_pk_lshrrev_b16 v150, 8, v150 op_sel:[1,1] op_sel_hi:[0,1]
	v_lshrrev_b32_e32 v152, 16, v151
	v_cvt_f16_i16_sdwa v151, sext(v151) dst_sel:DWORD dst_unused:UNUSED_PAD src0_sel:BYTE_0
	v_cvt_f16_i16_sdwa v152, sext(v152) dst_sel:DWORD dst_unused:UNUSED_PAD src0_sel:BYTE_0
	v_pack_b32_f16 v151, v151, v152
	v_lshrrev_b32_e32 v152, 16, v150
	v_cvt_f16_i16_sdwa v150, sext(v150) dst_sel:DWORD dst_unused:UNUSED_PAD src0_sel:BYTE_0
	v_pk_mul_f16 v151, v151, v149
	v_cvt_f16_i16_sdwa v152, sext(v152) dst_sel:DWORD dst_unused:UNUSED_PAD src0_sel:BYTE_0
	v_pk_fma_f16 v151, v151, v154, v153
	v_pack_b32_f16 v150, v150, v152
	v_mul_u32_u24_sdwa v153, v31, v80 dst_sel:DWORD dst_unused:UNUSED_PAD src0_sel:WORD_1 src1_sel:DWORD
	v_pk_mul_f16 v149, v150, v149
	v_pk_fma_f16 v152, v149, v154, v30
	v_ashrrev_i32_e32 v30, 31, v79
	v_add_co_u32 v154, vcc_lo, s3, v79
	v_add_co_ci_u32_e64 v155, null, s19, v30, vcc_lo
	v_add_co_u32 v30, vcc_lo, v154, v147
	v_add_co_ci_u32_e64 v31, null, v155, v145, vcc_lo
	;; [unrolled: 2-line block ×3, first 2 shown]
	s_clause 0x1
	global_load_ushort v30, v[30:31], off
	global_load_dword v31, v[149:150], off offset:2
	s_waitcnt vmcnt(1)
	v_mul_u32_u24_e32 v30, 0x10001, v30
	s_waitcnt vmcnt(0)
	v_pk_lshrrev_b16 v149, 8, v31 op_sel:[1,0] op_sel_hi:[0,0]
	v_pk_lshrrev_b16 v31, 8, v31 op_sel:[1,1] op_sel_hi:[0,1]
	v_lshrrev_b32_e32 v150, 16, v149
	v_cvt_f16_i16_sdwa v149, sext(v149) dst_sel:DWORD dst_unused:UNUSED_PAD src0_sel:BYTE_0
	v_cvt_f16_i16_sdwa v150, sext(v150) dst_sel:DWORD dst_unused:UNUSED_PAD src0_sel:BYTE_0
	v_pack_b32_f16 v149, v149, v150
	v_lshrrev_b32_e32 v150, 16, v31
	v_cvt_f16_i16_sdwa v31, sext(v31) dst_sel:DWORD dst_unused:UNUSED_PAD src0_sel:BYTE_0
	v_pk_mul_f16 v149, v149, v30
	v_cvt_f16_i16_sdwa v150, sext(v150) dst_sel:DWORD dst_unused:UNUSED_PAD src0_sel:BYTE_0
	v_pk_fma_f16 v156, v149, v153, v157
	v_pack_b32_f16 v31, v31, v150
	v_pk_mul_f16 v30, v31, v30
	v_pk_fma_f16 v157, v30, v153, v158
	v_add_co_u32 v30, vcc_lo, v154, v148
	v_add_co_ci_u32_e64 v31, null, v155, v146, vcc_lo
	v_add_co_u32 v149, vcc_lo, v30, v87
	v_add_co_ci_u32_e64 v150, null, 0, v31, vcc_lo
	global_load_ushort v30, v[30:31], off
	v_add_co_u32 v154, vcc_lo, s3, v81
	global_load_dword v31, v[149:150], off offset:2
	s_waitcnt vmcnt(1)
	v_mul_u32_u24_e32 v30, 0x10001, v30
	s_waitcnt vmcnt(0)
	v_pk_lshrrev_b16 v149, 8, v31 op_sel:[1,0] op_sel_hi:[0,0]
	v_pk_lshrrev_b16 v31, 8, v31 op_sel:[1,1] op_sel_hi:[0,1]
	v_lshrrev_b32_e32 v150, 16, v149
	v_cvt_f16_i16_sdwa v149, sext(v149) dst_sel:DWORD dst_unused:UNUSED_PAD src0_sel:BYTE_0
	v_cvt_f16_i16_sdwa v150, sext(v150) dst_sel:DWORD dst_unused:UNUSED_PAD src0_sel:BYTE_0
	v_pack_b32_f16 v149, v149, v150
	v_lshrrev_b32_e32 v150, 16, v31
	v_cvt_f16_i16_sdwa v31, sext(v31) dst_sel:DWORD dst_unused:UNUSED_PAD src0_sel:BYTE_0
	v_pk_mul_f16 v149, v149, v30
	v_cvt_f16_i16_sdwa v150, sext(v150) dst_sel:DWORD dst_unused:UNUSED_PAD src0_sel:BYTE_0
	v_pk_fma_f16 v151, v149, v153, v151
	v_pack_b32_f16 v31, v31, v150
	v_pk_mul_f16 v30, v31, v30
	v_pk_fma_f16 v152, v30, v153, v152
	v_ashrrev_i32_e32 v30, 31, v81
	v_mul_u32_u24_sdwa v153, v32, v80 dst_sel:DWORD dst_unused:UNUSED_PAD src0_sel:WORD_0 src1_sel:DWORD
	v_mul_u32_u24_sdwa v32, v32, v80 dst_sel:DWORD dst_unused:UNUSED_PAD src0_sel:WORD_1 src1_sel:DWORD
	v_add_co_ci_u32_e64 v155, null, s19, v30, vcc_lo
	v_add_co_u32 v30, vcc_lo, v154, v147
	v_add_co_ci_u32_e64 v31, null, v155, v145, vcc_lo
	v_add_co_u32 v149, vcc_lo, v30, v78
	v_add_co_ci_u32_e64 v150, null, 0, v31, vcc_lo
	s_clause 0x1
	global_load_ushort v30, v[30:31], off
	global_load_dword v31, v[149:150], off offset:2
	s_waitcnt vmcnt(1)
	v_mul_u32_u24_e32 v30, 0x10001, v30
	s_waitcnt vmcnt(0)
	v_pk_lshrrev_b16 v149, 8, v31 op_sel:[1,0] op_sel_hi:[0,0]
	v_pk_lshrrev_b16 v31, 8, v31 op_sel:[1,1] op_sel_hi:[0,1]
	v_lshrrev_b32_e32 v150, 16, v149
	v_cvt_f16_i16_sdwa v149, sext(v149) dst_sel:DWORD dst_unused:UNUSED_PAD src0_sel:BYTE_0
	v_cvt_f16_i16_sdwa v150, sext(v150) dst_sel:DWORD dst_unused:UNUSED_PAD src0_sel:BYTE_0
	v_pack_b32_f16 v149, v149, v150
	v_lshrrev_b32_e32 v150, 16, v31
	v_cvt_f16_i16_sdwa v31, sext(v31) dst_sel:DWORD dst_unused:UNUSED_PAD src0_sel:BYTE_0
	v_pk_mul_f16 v149, v149, v30
	v_cvt_f16_i16_sdwa v150, sext(v150) dst_sel:DWORD dst_unused:UNUSED_PAD src0_sel:BYTE_0
	v_pk_fma_f16 v156, v149, v153, v156
	v_pack_b32_f16 v31, v31, v150
	v_pk_mul_f16 v30, v31, v30
	v_pk_fma_f16 v157, v30, v153, v157
	v_add_co_u32 v30, vcc_lo, v154, v148
	v_add_co_ci_u32_e64 v31, null, v155, v146, vcc_lo
	v_add_co_u32 v149, vcc_lo, v30, v87
	v_add_co_ci_u32_e64 v150, null, 0, v31, vcc_lo
	s_clause 0x1
	global_load_ushort v30, v[30:31], off
	global_load_dword v31, v[149:150], off offset:2
	s_waitcnt vmcnt(1)
	v_mul_u32_u24_e32 v30, 0x10001, v30
	s_waitcnt vmcnt(0)
	v_pk_lshrrev_b16 v149, 8, v31 op_sel:[1,0] op_sel_hi:[0,0]
	v_pk_lshrrev_b16 v31, 8, v31 op_sel:[1,1] op_sel_hi:[0,1]
	v_lshrrev_b32_e32 v150, 16, v149
	v_cvt_f16_i16_sdwa v149, sext(v149) dst_sel:DWORD dst_unused:UNUSED_PAD src0_sel:BYTE_0
	v_cvt_f16_i16_sdwa v150, sext(v150) dst_sel:DWORD dst_unused:UNUSED_PAD src0_sel:BYTE_0
	v_pack_b32_f16 v149, v149, v150
	v_lshrrev_b32_e32 v150, 16, v31
	v_cvt_f16_i16_sdwa v31, sext(v31) dst_sel:DWORD dst_unused:UNUSED_PAD src0_sel:BYTE_0
	v_pk_mul_f16 v149, v149, v30
	v_cvt_f16_i16_sdwa v150, sext(v150) dst_sel:DWORD dst_unused:UNUSED_PAD src0_sel:BYTE_0
	v_pk_fma_f16 v151, v149, v153, v151
	v_pack_b32_f16 v31, v31, v150
	v_pk_mul_f16 v30, v31, v30
	v_pk_fma_f16 v152, v30, v153, v152
	v_ashrrev_i32_e32 v30, 31, v83
	v_add_co_u32 v153, vcc_lo, s3, v83
	v_add_co_ci_u32_e64 v154, null, s19, v30, vcc_lo
	v_add_co_u32 v30, vcc_lo, v153, v147
	v_add_co_ci_u32_e64 v31, null, v154, v145, vcc_lo
	;; [unrolled: 2-line block ×3, first 2 shown]
	s_clause 0x1
	global_load_ushort v30, v[30:31], off
	global_load_dword v31, v[149:150], off offset:2
	s_waitcnt vmcnt(1)
	v_mul_u32_u24_e32 v30, 0x10001, v30
	s_waitcnt vmcnt(0)
	v_pk_lshrrev_b16 v149, 8, v31 op_sel:[1,0] op_sel_hi:[0,0]
	v_pk_lshrrev_b16 v31, 8, v31 op_sel:[1,1] op_sel_hi:[0,1]
	v_lshrrev_b32_e32 v150, 16, v149
	v_cvt_f16_i16_sdwa v149, sext(v149) dst_sel:DWORD dst_unused:UNUSED_PAD src0_sel:BYTE_0
	v_cvt_f16_i16_sdwa v150, sext(v150) dst_sel:DWORD dst_unused:UNUSED_PAD src0_sel:BYTE_0
	v_pack_b32_f16 v149, v149, v150
	v_lshrrev_b32_e32 v150, 16, v31
	v_cvt_f16_i16_sdwa v31, sext(v31) dst_sel:DWORD dst_unused:UNUSED_PAD src0_sel:BYTE_0
	v_pk_mul_f16 v149, v149, v30
	v_cvt_f16_i16_sdwa v150, sext(v150) dst_sel:DWORD dst_unused:UNUSED_PAD src0_sel:BYTE_0
	v_pk_fma_f16 v155, v149, v32, v156
	v_pack_b32_f16 v31, v31, v150
	v_pk_mul_f16 v30, v31, v30
	v_pk_fma_f16 v156, v30, v32, v157
	v_add_co_u32 v30, vcc_lo, v153, v148
	v_add_co_ci_u32_e64 v31, null, v154, v146, vcc_lo
	v_add_co_u32 v149, vcc_lo, v30, v87
	v_add_co_ci_u32_e64 v150, null, 0, v31, vcc_lo
	global_load_ushort v30, v[30:31], off
	v_add_co_u32 v153, vcc_lo, s3, v84
	global_load_dword v31, v[149:150], off offset:2
	s_waitcnt vmcnt(1)
	v_mul_u32_u24_e32 v30, 0x10001, v30
	s_waitcnt vmcnt(0)
	v_pk_lshrrev_b16 v149, 8, v31 op_sel:[1,0] op_sel_hi:[0,0]
	v_pk_lshrrev_b16 v31, 8, v31 op_sel:[1,1] op_sel_hi:[0,1]
	v_lshrrev_b32_e32 v150, 16, v149
	v_cvt_f16_i16_sdwa v149, sext(v149) dst_sel:DWORD dst_unused:UNUSED_PAD src0_sel:BYTE_0
	v_cvt_f16_i16_sdwa v150, sext(v150) dst_sel:DWORD dst_unused:UNUSED_PAD src0_sel:BYTE_0
	v_pack_b32_f16 v149, v149, v150
	v_lshrrev_b32_e32 v150, 16, v31
	v_cvt_f16_i16_sdwa v31, sext(v31) dst_sel:DWORD dst_unused:UNUSED_PAD src0_sel:BYTE_0
	v_pk_mul_f16 v149, v149, v30
	v_cvt_f16_i16_sdwa v150, sext(v150) dst_sel:DWORD dst_unused:UNUSED_PAD src0_sel:BYTE_0
	v_pk_fma_f16 v151, v149, v32, v151
	v_pack_b32_f16 v31, v31, v150
	v_pk_mul_f16 v30, v31, v30
	v_pk_fma_f16 v32, v30, v32, v152
	v_ashrrev_i32_e32 v30, 31, v84
	v_mul_u32_u24_sdwa v152, v33, v80 dst_sel:DWORD dst_unused:UNUSED_PAD src0_sel:WORD_0 src1_sel:DWORD
	v_add_co_ci_u32_e64 v154, null, s19, v30, vcc_lo
	v_add_co_u32 v30, vcc_lo, v153, v147
	v_add_co_ci_u32_e64 v31, null, v154, v145, vcc_lo
	v_add_co_u32 v149, vcc_lo, v30, v78
	v_add_co_ci_u32_e64 v150, null, 0, v31, vcc_lo
	s_clause 0x1
	global_load_ushort v30, v[30:31], off
	global_load_dword v31, v[149:150], off offset:2
	s_waitcnt vmcnt(1)
	v_mul_u32_u24_e32 v30, 0x10001, v30
	s_waitcnt vmcnt(0)
	v_pk_lshrrev_b16 v149, 8, v31 op_sel:[1,0] op_sel_hi:[0,0]
	v_pk_lshrrev_b16 v31, 8, v31 op_sel:[1,1] op_sel_hi:[0,1]
	v_lshrrev_b32_e32 v150, 16, v149
	v_cvt_f16_i16_sdwa v149, sext(v149) dst_sel:DWORD dst_unused:UNUSED_PAD src0_sel:BYTE_0
	v_cvt_f16_i16_sdwa v150, sext(v150) dst_sel:DWORD dst_unused:UNUSED_PAD src0_sel:BYTE_0
	v_pack_b32_f16 v149, v149, v150
	v_lshrrev_b32_e32 v150, 16, v31
	v_cvt_f16_i16_sdwa v31, sext(v31) dst_sel:DWORD dst_unused:UNUSED_PAD src0_sel:BYTE_0
	v_pk_mul_f16 v149, v149, v30
	v_cvt_f16_i16_sdwa v150, sext(v150) dst_sel:DWORD dst_unused:UNUSED_PAD src0_sel:BYTE_0
	v_pk_fma_f16 v155, v149, v152, v155
	v_pack_b32_f16 v31, v31, v150
	v_pk_mul_f16 v30, v31, v30
	v_pk_fma_f16 v156, v30, v152, v156
	v_add_co_u32 v30, vcc_lo, v153, v148
	v_add_co_ci_u32_e64 v31, null, v154, v146, vcc_lo
	v_add_co_u32 v149, vcc_lo, v30, v87
	v_add_co_ci_u32_e64 v150, null, 0, v31, vcc_lo
	s_clause 0x1
	global_load_ushort v30, v[30:31], off
	global_load_dword v31, v[149:150], off offset:2
	s_waitcnt vmcnt(1)
	v_mul_u32_u24_e32 v30, 0x10001, v30
	s_waitcnt vmcnt(0)
	v_pk_lshrrev_b16 v149, 8, v31 op_sel:[1,0] op_sel_hi:[0,0]
	v_pk_lshrrev_b16 v31, 8, v31 op_sel:[1,1] op_sel_hi:[0,1]
	v_lshrrev_b32_e32 v150, 16, v149
	v_cvt_f16_i16_sdwa v149, sext(v149) dst_sel:DWORD dst_unused:UNUSED_PAD src0_sel:BYTE_0
	v_cvt_f16_i16_sdwa v150, sext(v150) dst_sel:DWORD dst_unused:UNUSED_PAD src0_sel:BYTE_0
	v_pack_b32_f16 v149, v149, v150
	v_lshrrev_b32_e32 v150, 16, v31
	v_cvt_f16_i16_sdwa v31, sext(v31) dst_sel:DWORD dst_unused:UNUSED_PAD src0_sel:BYTE_0
	v_pk_mul_f16 v149, v149, v30
	v_cvt_f16_i16_sdwa v150, sext(v150) dst_sel:DWORD dst_unused:UNUSED_PAD src0_sel:BYTE_0
	v_pk_fma_f16 v149, v149, v152, v151
	v_pack_b32_f16 v31, v31, v150
	v_mul_u32_u24_sdwa v151, v33, v80 dst_sel:DWORD dst_unused:UNUSED_PAD src0_sel:WORD_1 src1_sel:DWORD
	v_pk_mul_f16 v30, v31, v30
	v_pk_fma_f16 v150, v30, v152, v32
	v_add_co_u32 v152, vcc_lo, s3, v85
	v_add_co_ci_u32_e64 v153, null, s19, v108, vcc_lo
	v_add_co_u32 v30, vcc_lo, v152, v147
	v_add_co_ci_u32_e64 v31, null, v153, v145, vcc_lo
	;; [unrolled: 2-line block ×3, first 2 shown]
	s_clause 0x1
	global_load_ushort v30, v[30:31], off
	global_load_dword v31, v[32:33], off offset:2
	s_waitcnt vmcnt(1)
	v_mul_u32_u24_e32 v30, 0x10001, v30
	s_waitcnt vmcnt(0)
	v_pk_lshrrev_b16 v32, 8, v31 op_sel:[1,0] op_sel_hi:[0,0]
	v_pk_lshrrev_b16 v31, 8, v31 op_sel:[1,1] op_sel_hi:[0,1]
	v_lshrrev_b32_e32 v33, 16, v32
	v_cvt_f16_i16_sdwa v32, sext(v32) dst_sel:DWORD dst_unused:UNUSED_PAD src0_sel:BYTE_0
	v_cvt_f16_i16_sdwa v33, sext(v33) dst_sel:DWORD dst_unused:UNUSED_PAD src0_sel:BYTE_0
	v_pack_b32_f16 v32, v32, v33
	v_lshrrev_b32_e32 v33, 16, v31
	v_cvt_f16_i16_sdwa v31, sext(v31) dst_sel:DWORD dst_unused:UNUSED_PAD src0_sel:BYTE_0
	v_pk_mul_f16 v32, v32, v30
	v_cvt_f16_i16_sdwa v33, sext(v33) dst_sel:DWORD dst_unused:UNUSED_PAD src0_sel:BYTE_0
	v_pk_fma_f16 v154, v32, v151, v155
	v_pack_b32_f16 v31, v31, v33
	v_pk_mul_f16 v30, v31, v30
	v_pk_fma_f16 v155, v30, v151, v156
	v_add_co_u32 v30, vcc_lo, v152, v148
	v_add_co_ci_u32_e64 v31, null, v153, v146, vcc_lo
	v_add_co_u32 v32, vcc_lo, v30, v87
	v_add_co_ci_u32_e64 v33, null, 0, v31, vcc_lo
	s_clause 0x1
	global_load_ushort v30, v[30:31], off
	global_load_dword v31, v[32:33], off offset:2
	s_waitcnt vmcnt(1)
	v_mul_u32_u24_e32 v30, 0x10001, v30
	s_waitcnt vmcnt(0)
	v_pk_lshrrev_b16 v32, 8, v31 op_sel:[1,0] op_sel_hi:[0,0]
	v_pk_lshrrev_b16 v31, 8, v31 op_sel:[1,1] op_sel_hi:[0,1]
	v_lshrrev_b32_e32 v33, 16, v32
	v_cvt_f16_i16_sdwa v32, sext(v32) dst_sel:DWORD dst_unused:UNUSED_PAD src0_sel:BYTE_0
	v_cvt_f16_i16_sdwa v33, sext(v33) dst_sel:DWORD dst_unused:UNUSED_PAD src0_sel:BYTE_0
	v_pack_b32_f16 v32, v32, v33
	v_lshrrev_b32_e32 v33, 16, v31
	v_cvt_f16_i16_sdwa v31, sext(v31) dst_sel:DWORD dst_unused:UNUSED_PAD src0_sel:BYTE_0
	v_pk_mul_f16 v32, v32, v30
	v_cvt_f16_i16_sdwa v33, sext(v33) dst_sel:DWORD dst_unused:UNUSED_PAD src0_sel:BYTE_0
	v_pk_fma_f16 v32, v32, v151, v149
	v_pack_b32_f16 v31, v31, v33
	s_waitcnt lgkmcnt(2)
	v_mul_u32_u24_sdwa v149, v26, v80 dst_sel:DWORD dst_unused:UNUSED_PAD src0_sel:WORD_0 src1_sel:DWORD
	v_mul_u32_u24_sdwa v26, v26, v80 dst_sel:DWORD dst_unused:UNUSED_PAD src0_sel:WORD_1 src1_sel:DWORD
	v_pk_mul_f16 v30, v31, v30
	v_pk_fma_f16 v33, v30, v151, v150
	v_add_co_u32 v151, vcc_lo, s3, v88
	v_add_co_ci_u32_e64 v150, null, s19, v111, vcc_lo
	v_add_co_u32 v30, vcc_lo, v151, v147
	v_add_co_ci_u32_e64 v31, null, v150, v145, vcc_lo
	;; [unrolled: 2-line block ×3, first 2 shown]
	global_load_ushort v30, v[30:31], off
	v_add_co_u32 v151, vcc_lo, v151, v148
	global_load_dword v31, v[152:153], off offset:2
	s_waitcnt vmcnt(1)
	v_mul_u32_u24_e32 v30, 0x10001, v30
	s_waitcnt vmcnt(0)
	v_pk_lshrrev_b16 v152, 8, v31 op_sel:[1,0] op_sel_hi:[0,0]
	v_pk_lshrrev_b16 v31, 8, v31 op_sel:[1,1] op_sel_hi:[0,1]
	v_lshrrev_b32_e32 v153, 16, v152
	v_cvt_f16_i16_sdwa v152, sext(v152) dst_sel:DWORD dst_unused:UNUSED_PAD src0_sel:BYTE_0
	v_cvt_f16_i16_sdwa v153, sext(v153) dst_sel:DWORD dst_unused:UNUSED_PAD src0_sel:BYTE_0
	v_pack_b32_f16 v152, v152, v153
	v_lshrrev_b32_e32 v153, 16, v31
	v_cvt_f16_i16_sdwa v31, sext(v31) dst_sel:DWORD dst_unused:UNUSED_PAD src0_sel:BYTE_0
	v_pk_mul_f16 v152, v152, v30
	v_cvt_f16_i16_sdwa v153, sext(v153) dst_sel:DWORD dst_unused:UNUSED_PAD src0_sel:BYTE_0
	v_pack_b32_f16 v31, v31, v153
	v_pk_mul_f16 v31, v31, v30
	v_pk_fma_f16 v30, v152, v149, v154
	v_add_co_ci_u32_e64 v152, null, v150, v146, vcc_lo
	v_add_co_u32 v153, vcc_lo, v151, v87
	v_pk_fma_f16 v31, v31, v149, v155
	v_add_co_ci_u32_e64 v154, null, 0, v152, vcc_lo
	s_clause 0x1
	global_load_ushort v150, v[151:152], off
	global_load_dword v151, v[153:154], off offset:2
	s_waitcnt vmcnt(1)
	v_mul_u32_u24_e32 v150, 0x10001, v150
	s_waitcnt vmcnt(0)
	v_pk_lshrrev_b16 v152, 8, v151 op_sel:[1,0] op_sel_hi:[0,0]
	v_pk_lshrrev_b16 v151, 8, v151 op_sel:[1,1] op_sel_hi:[0,1]
	v_lshrrev_b32_e32 v153, 16, v152
	v_cvt_f16_i16_sdwa v152, sext(v152) dst_sel:DWORD dst_unused:UNUSED_PAD src0_sel:BYTE_0
	v_cvt_f16_i16_sdwa v153, sext(v153) dst_sel:DWORD dst_unused:UNUSED_PAD src0_sel:BYTE_0
	v_pack_b32_f16 v152, v152, v153
	v_lshrrev_b32_e32 v153, 16, v151
	v_cvt_f16_i16_sdwa v151, sext(v151) dst_sel:DWORD dst_unused:UNUSED_PAD src0_sel:BYTE_0
	v_pk_mul_f16 v152, v152, v150
	v_cvt_f16_i16_sdwa v153, sext(v153) dst_sel:DWORD dst_unused:UNUSED_PAD src0_sel:BYTE_0
	v_pk_fma_f16 v32, v152, v149, v32
	v_pack_b32_f16 v151, v151, v153
	v_add_co_u32 v153, vcc_lo, s3, v93
	v_add_co_ci_u32_e64 v154, null, s19, v114, vcc_lo
	v_pk_mul_f16 v150, v151, v150
	v_pk_fma_f16 v33, v150, v149, v33
	v_add_co_u32 v149, vcc_lo, v153, v147
	v_add_co_ci_u32_e64 v150, null, v154, v145, vcc_lo
	v_add_co_u32 v151, vcc_lo, v149, v78
	v_add_co_ci_u32_e64 v152, null, 0, v150, vcc_lo
	s_clause 0x1
	global_load_ushort v149, v[149:150], off
	global_load_dword v150, v[151:152], off offset:2
	s_waitcnt vmcnt(1)
	v_mul_u32_u24_e32 v149, 0x10001, v149
	s_waitcnt vmcnt(0)
	v_pk_lshrrev_b16 v151, 8, v150 op_sel:[1,0] op_sel_hi:[0,0]
	v_pk_lshrrev_b16 v150, 8, v150 op_sel:[1,1] op_sel_hi:[0,1]
	v_lshrrev_b32_e32 v152, 16, v151
	v_cvt_f16_i16_sdwa v151, sext(v151) dst_sel:DWORD dst_unused:UNUSED_PAD src0_sel:BYTE_0
	v_cvt_f16_i16_sdwa v152, sext(v152) dst_sel:DWORD dst_unused:UNUSED_PAD src0_sel:BYTE_0
	v_pack_b32_f16 v151, v151, v152
	v_lshrrev_b32_e32 v152, 16, v150
	v_cvt_f16_i16_sdwa v150, sext(v150) dst_sel:DWORD dst_unused:UNUSED_PAD src0_sel:BYTE_0
	v_pk_mul_f16 v151, v151, v149
	v_cvt_f16_i16_sdwa v152, sext(v152) dst_sel:DWORD dst_unused:UNUSED_PAD src0_sel:BYTE_0
	v_pk_fma_f16 v151, v151, v26, v30
	v_pack_b32_f16 v150, v150, v152
	v_add_co_u32 v30, vcc_lo, v153, v148
	v_pk_mul_f16 v149, v150, v149
	v_pk_fma_f16 v152, v149, v26, v31
	v_add_co_ci_u32_e64 v31, null, v154, v146, vcc_lo
	v_add_co_u32 v149, vcc_lo, v30, v87
	v_add_co_ci_u32_e64 v150, null, 0, v31, vcc_lo
	global_load_ushort v30, v[30:31], off
	v_add_co_u32 v153, vcc_lo, s3, v94
	global_load_dword v31, v[149:150], off offset:2
	v_add_co_ci_u32_e64 v154, null, s19, v115, vcc_lo
	s_waitcnt vmcnt(1)
	v_mul_u32_u24_e32 v30, 0x10001, v30
	s_waitcnt vmcnt(0)
	v_pk_lshrrev_b16 v149, 8, v31 op_sel:[1,0] op_sel_hi:[0,0]
	v_pk_lshrrev_b16 v31, 8, v31 op_sel:[1,1] op_sel_hi:[0,1]
	v_lshrrev_b32_e32 v150, 16, v149
	v_cvt_f16_i16_sdwa v149, sext(v149) dst_sel:DWORD dst_unused:UNUSED_PAD src0_sel:BYTE_0
	v_cvt_f16_i16_sdwa v150, sext(v150) dst_sel:DWORD dst_unused:UNUSED_PAD src0_sel:BYTE_0
	v_pack_b32_f16 v149, v149, v150
	v_lshrrev_b32_e32 v150, 16, v31
	v_cvt_f16_i16_sdwa v31, sext(v31) dst_sel:DWORD dst_unused:UNUSED_PAD src0_sel:BYTE_0
	v_pk_mul_f16 v149, v149, v30
	v_cvt_f16_i16_sdwa v150, sext(v150) dst_sel:DWORD dst_unused:UNUSED_PAD src0_sel:BYTE_0
	v_pk_fma_f16 v149, v149, v26, v32
	v_pack_b32_f16 v31, v31, v150
	v_mul_u32_u24_sdwa v150, v27, v80 dst_sel:DWORD dst_unused:UNUSED_PAD src0_sel:WORD_0 src1_sel:DWORD
	v_pk_mul_f16 v30, v31, v30
	v_pk_fma_f16 v26, v30, v26, v33
	v_add_co_u32 v30, vcc_lo, v153, v147
	v_add_co_ci_u32_e64 v31, null, v154, v145, vcc_lo
	v_add_co_u32 v32, vcc_lo, v30, v78
	v_add_co_ci_u32_e64 v33, null, 0, v31, vcc_lo
	s_clause 0x1
	global_load_ushort v30, v[30:31], off
	global_load_dword v31, v[32:33], off offset:2
	s_waitcnt vmcnt(1)
	v_mul_u32_u24_e32 v30, 0x10001, v30
	s_waitcnt vmcnt(0)
	v_pk_lshrrev_b16 v32, 8, v31 op_sel:[1,0] op_sel_hi:[0,0]
	v_pk_lshrrev_b16 v31, 8, v31 op_sel:[1,1] op_sel_hi:[0,1]
	v_lshrrev_b32_e32 v33, 16, v32
	v_cvt_f16_i16_sdwa v32, sext(v32) dst_sel:DWORD dst_unused:UNUSED_PAD src0_sel:BYTE_0
	v_cvt_f16_i16_sdwa v33, sext(v33) dst_sel:DWORD dst_unused:UNUSED_PAD src0_sel:BYTE_0
	v_pack_b32_f16 v32, v32, v33
	v_lshrrev_b32_e32 v33, 16, v31
	v_cvt_f16_i16_sdwa v31, sext(v31) dst_sel:DWORD dst_unused:UNUSED_PAD src0_sel:BYTE_0
	v_pk_mul_f16 v32, v32, v30
	v_cvt_f16_i16_sdwa v33, sext(v33) dst_sel:DWORD dst_unused:UNUSED_PAD src0_sel:BYTE_0
	v_pk_fma_f16 v151, v32, v150, v151
	v_pack_b32_f16 v31, v31, v33
	v_pk_mul_f16 v30, v31, v30
	v_pk_fma_f16 v152, v30, v150, v152
	v_add_co_u32 v30, vcc_lo, v153, v148
	v_add_co_ci_u32_e64 v31, null, v154, v146, vcc_lo
	v_add_co_u32 v32, vcc_lo, v30, v87
	v_add_co_ci_u32_e64 v33, null, 0, v31, vcc_lo
	s_clause 0x1
	global_load_ushort v30, v[30:31], off
	global_load_dword v31, v[32:33], off offset:2
	s_waitcnt vmcnt(1)
	v_mul_u32_u24_e32 v30, 0x10001, v30
	s_waitcnt vmcnt(0)
	v_pk_lshrrev_b16 v32, 8, v31 op_sel:[1,0] op_sel_hi:[0,0]
	v_pk_lshrrev_b16 v31, 8, v31 op_sel:[1,1] op_sel_hi:[0,1]
	v_lshrrev_b32_e32 v33, 16, v32
	v_cvt_f16_i16_sdwa v32, sext(v32) dst_sel:DWORD dst_unused:UNUSED_PAD src0_sel:BYTE_0
	v_cvt_f16_i16_sdwa v33, sext(v33) dst_sel:DWORD dst_unused:UNUSED_PAD src0_sel:BYTE_0
	v_pack_b32_f16 v32, v32, v33
	v_lshrrev_b32_e32 v33, 16, v31
	v_cvt_f16_i16_sdwa v31, sext(v31) dst_sel:DWORD dst_unused:UNUSED_PAD src0_sel:BYTE_0
	v_pk_mul_f16 v32, v32, v30
	v_cvt_f16_i16_sdwa v33, sext(v33) dst_sel:DWORD dst_unused:UNUSED_PAD src0_sel:BYTE_0
	v_pk_fma_f16 v32, v32, v150, v149
	v_pack_b32_f16 v31, v31, v33
	v_mul_u32_u24_sdwa v149, v27, v80 dst_sel:DWORD dst_unused:UNUSED_PAD src0_sel:WORD_1 src1_sel:DWORD
	v_pk_mul_f16 v30, v31, v30
	v_pk_fma_f16 v33, v30, v150, v26
	v_add_co_u32 v150, vcc_lo, s3, v95
	v_add_co_ci_u32_e64 v153, null, s19, v118, vcc_lo
	v_add_co_u32 v26, vcc_lo, v150, v147
	v_add_co_ci_u32_e64 v27, null, v153, v145, vcc_lo
	;; [unrolled: 2-line block ×3, first 2 shown]
	s_clause 0x1
	global_load_ushort v26, v[26:27], off
	global_load_dword v27, v[30:31], off offset:2
	s_waitcnt vmcnt(1)
	v_mul_u32_u24_e32 v26, 0x10001, v26
	s_waitcnt vmcnt(0)
	v_pk_lshrrev_b16 v30, 8, v27 op_sel:[1,0] op_sel_hi:[0,0]
	v_pk_lshrrev_b16 v27, 8, v27 op_sel:[1,1] op_sel_hi:[0,1]
	v_lshrrev_b32_e32 v31, 16, v30
	v_cvt_f16_i16_sdwa v30, sext(v30) dst_sel:DWORD dst_unused:UNUSED_PAD src0_sel:BYTE_0
	v_cvt_f16_i16_sdwa v31, sext(v31) dst_sel:DWORD dst_unused:UNUSED_PAD src0_sel:BYTE_0
	v_pack_b32_f16 v30, v30, v31
	v_lshrrev_b32_e32 v31, 16, v27
	v_cvt_f16_i16_sdwa v27, sext(v27) dst_sel:DWORD dst_unused:UNUSED_PAD src0_sel:BYTE_0
	v_pk_mul_f16 v30, v30, v26
	v_cvt_f16_i16_sdwa v31, sext(v31) dst_sel:DWORD dst_unused:UNUSED_PAD src0_sel:BYTE_0
	v_pk_fma_f16 v151, v30, v149, v151
	v_pack_b32_f16 v27, v27, v31
	v_pk_mul_f16 v26, v27, v26
	v_pk_fma_f16 v152, v26, v149, v152
	v_add_co_u32 v26, vcc_lo, v150, v148
	v_add_co_ci_u32_e64 v27, null, v153, v146, vcc_lo
	v_add_co_u32 v30, vcc_lo, v26, v87
	v_add_co_ci_u32_e64 v31, null, 0, v27, vcc_lo
	global_load_ushort v26, v[26:27], off
	v_add_co_u32 v150, vcc_lo, s3, v96
	global_load_dword v27, v[30:31], off offset:2
	v_add_co_ci_u32_e64 v153, null, s19, v120, vcc_lo
	s_waitcnt vmcnt(1)
	v_mul_u32_u24_e32 v26, 0x10001, v26
	s_waitcnt vmcnt(0)
	v_pk_lshrrev_b16 v30, 8, v27 op_sel:[1,0] op_sel_hi:[0,0]
	v_pk_lshrrev_b16 v27, 8, v27 op_sel:[1,1] op_sel_hi:[0,1]
	v_lshrrev_b32_e32 v31, 16, v30
	v_cvt_f16_i16_sdwa v30, sext(v30) dst_sel:DWORD dst_unused:UNUSED_PAD src0_sel:BYTE_0
	v_cvt_f16_i16_sdwa v31, sext(v31) dst_sel:DWORD dst_unused:UNUSED_PAD src0_sel:BYTE_0
	v_pack_b32_f16 v30, v30, v31
	v_lshrrev_b32_e32 v31, 16, v27
	v_cvt_f16_i16_sdwa v27, sext(v27) dst_sel:DWORD dst_unused:UNUSED_PAD src0_sel:BYTE_0
	v_pk_mul_f16 v30, v30, v26
	v_cvt_f16_i16_sdwa v31, sext(v31) dst_sel:DWORD dst_unused:UNUSED_PAD src0_sel:BYTE_0
	v_pk_fma_f16 v32, v30, v149, v32
	v_pack_b32_f16 v27, v27, v31
	v_pk_mul_f16 v26, v27, v26
	v_pk_fma_f16 v33, v26, v149, v33
	v_add_co_u32 v26, vcc_lo, v150, v147
	v_add_co_ci_u32_e64 v27, null, v153, v145, vcc_lo
	v_mul_u32_u24_sdwa v149, v28, v80 dst_sel:DWORD dst_unused:UNUSED_PAD src0_sel:WORD_0 src1_sel:DWORD
	v_add_co_u32 v30, vcc_lo, v26, v78
	v_add_co_ci_u32_e64 v31, null, 0, v27, vcc_lo
	global_load_ushort v26, v[26:27], off
	v_mul_u32_u24_sdwa v28, v28, v80 dst_sel:DWORD dst_unused:UNUSED_PAD src0_sel:WORD_1 src1_sel:DWORD
	global_load_dword v27, v[30:31], off offset:2
	s_waitcnt vmcnt(1)
	v_mul_u32_u24_e32 v26, 0x10001, v26
	s_waitcnt vmcnt(0)
	v_pk_lshrrev_b16 v30, 8, v27 op_sel:[1,0] op_sel_hi:[0,0]
	v_pk_lshrrev_b16 v27, 8, v27 op_sel:[1,1] op_sel_hi:[0,1]
	v_lshrrev_b32_e32 v31, 16, v30
	v_cvt_f16_i16_sdwa v30, sext(v30) dst_sel:DWORD dst_unused:UNUSED_PAD src0_sel:BYTE_0
	v_cvt_f16_i16_sdwa v31, sext(v31) dst_sel:DWORD dst_unused:UNUSED_PAD src0_sel:BYTE_0
	v_pack_b32_f16 v30, v30, v31
	v_lshrrev_b32_e32 v31, 16, v27
	v_cvt_f16_i16_sdwa v27, sext(v27) dst_sel:DWORD dst_unused:UNUSED_PAD src0_sel:BYTE_0
	v_pk_mul_f16 v30, v30, v26
	v_cvt_f16_i16_sdwa v31, sext(v31) dst_sel:DWORD dst_unused:UNUSED_PAD src0_sel:BYTE_0
	v_pk_fma_f16 v151, v30, v149, v151
	v_pack_b32_f16 v27, v27, v31
	v_pk_mul_f16 v26, v27, v26
	v_pk_fma_f16 v152, v26, v149, v152
	v_add_co_u32 v26, vcc_lo, v150, v148
	v_add_co_ci_u32_e64 v27, null, v153, v146, vcc_lo
	v_add_co_u32 v30, vcc_lo, v26, v87
	v_add_co_ci_u32_e64 v31, null, 0, v27, vcc_lo
	s_clause 0x1
	global_load_ushort v26, v[26:27], off
	global_load_dword v27, v[30:31], off offset:2
	s_waitcnt vmcnt(1)
	v_mul_u32_u24_e32 v26, 0x10001, v26
	s_waitcnt vmcnt(0)
	v_pk_lshrrev_b16 v30, 8, v27 op_sel:[1,0] op_sel_hi:[0,0]
	v_pk_lshrrev_b16 v27, 8, v27 op_sel:[1,1] op_sel_hi:[0,1]
	v_lshrrev_b32_e32 v31, 16, v30
	v_cvt_f16_i16_sdwa v30, sext(v30) dst_sel:DWORD dst_unused:UNUSED_PAD src0_sel:BYTE_0
	v_cvt_f16_i16_sdwa v31, sext(v31) dst_sel:DWORD dst_unused:UNUSED_PAD src0_sel:BYTE_0
	v_pack_b32_f16 v30, v30, v31
	v_lshrrev_b32_e32 v31, 16, v27
	v_cvt_f16_i16_sdwa v27, sext(v27) dst_sel:DWORD dst_unused:UNUSED_PAD src0_sel:BYTE_0
	v_pk_mul_f16 v30, v30, v26
	v_cvt_f16_i16_sdwa v31, sext(v31) dst_sel:DWORD dst_unused:UNUSED_PAD src0_sel:BYTE_0
	v_pk_fma_f16 v32, v30, v149, v32
	v_pack_b32_f16 v27, v27, v31
	v_pk_mul_f16 v26, v27, v26
	v_pk_fma_f16 v33, v26, v149, v33
	v_add_co_u32 v149, vcc_lo, s3, v97
	v_add_co_ci_u32_e64 v150, null, s19, v121, vcc_lo
	v_add_co_u32 v26, vcc_lo, v149, v147
	v_add_co_ci_u32_e64 v27, null, v150, v145, vcc_lo
	;; [unrolled: 2-line block ×3, first 2 shown]
	s_clause 0x1
	global_load_ushort v26, v[26:27], off
	global_load_dword v27, v[30:31], off offset:2
	s_waitcnt vmcnt(1)
	v_mul_u32_u24_e32 v26, 0x10001, v26
	s_waitcnt vmcnt(0)
	v_pk_lshrrev_b16 v30, 8, v27 op_sel:[1,0] op_sel_hi:[0,0]
	v_pk_lshrrev_b16 v27, 8, v27 op_sel:[1,1] op_sel_hi:[0,1]
	v_lshrrev_b32_e32 v31, 16, v30
	v_cvt_f16_i16_sdwa v30, sext(v30) dst_sel:DWORD dst_unused:UNUSED_PAD src0_sel:BYTE_0
	v_cvt_f16_i16_sdwa v31, sext(v31) dst_sel:DWORD dst_unused:UNUSED_PAD src0_sel:BYTE_0
	v_pack_b32_f16 v30, v30, v31
	v_lshrrev_b32_e32 v31, 16, v27
	v_cvt_f16_i16_sdwa v27, sext(v27) dst_sel:DWORD dst_unused:UNUSED_PAD src0_sel:BYTE_0
	v_pk_mul_f16 v30, v30, v26
	v_cvt_f16_i16_sdwa v31, sext(v31) dst_sel:DWORD dst_unused:UNUSED_PAD src0_sel:BYTE_0
	v_pk_fma_f16 v151, v30, v28, v151
	v_pack_b32_f16 v27, v27, v31
	v_pk_mul_f16 v26, v27, v26
	v_pk_fma_f16 v152, v26, v28, v152
	v_add_co_u32 v26, vcc_lo, v149, v148
	v_add_co_ci_u32_e64 v27, null, v150, v146, vcc_lo
	v_add_co_u32 v30, vcc_lo, v26, v87
	v_add_co_ci_u32_e64 v31, null, 0, v27, vcc_lo
	global_load_ushort v26, v[26:27], off
	v_add_co_u32 v149, vcc_lo, s3, v98
	global_load_dword v27, v[30:31], off offset:2
	v_add_co_ci_u32_e64 v150, null, s19, v122, vcc_lo
	s_waitcnt vmcnt(1)
	v_mul_u32_u24_e32 v26, 0x10001, v26
	s_waitcnt vmcnt(0)
	v_pk_lshrrev_b16 v30, 8, v27 op_sel:[1,0] op_sel_hi:[0,0]
	v_pk_lshrrev_b16 v27, 8, v27 op_sel:[1,1] op_sel_hi:[0,1]
	v_lshrrev_b32_e32 v31, 16, v30
	v_cvt_f16_i16_sdwa v30, sext(v30) dst_sel:DWORD dst_unused:UNUSED_PAD src0_sel:BYTE_0
	v_cvt_f16_i16_sdwa v31, sext(v31) dst_sel:DWORD dst_unused:UNUSED_PAD src0_sel:BYTE_0
	v_pack_b32_f16 v30, v30, v31
	v_lshrrev_b32_e32 v31, 16, v27
	v_cvt_f16_i16_sdwa v27, sext(v27) dst_sel:DWORD dst_unused:UNUSED_PAD src0_sel:BYTE_0
	v_pk_mul_f16 v30, v30, v26
	v_cvt_f16_i16_sdwa v31, sext(v31) dst_sel:DWORD dst_unused:UNUSED_PAD src0_sel:BYTE_0
	v_pk_fma_f16 v32, v30, v28, v32
	v_pack_b32_f16 v27, v27, v31
	v_pk_mul_f16 v26, v27, v26
	v_pk_fma_f16 v28, v26, v28, v33
	v_add_co_u32 v26, vcc_lo, v149, v147
	v_add_co_ci_u32_e64 v27, null, v150, v145, vcc_lo
	v_mul_u32_u24_sdwa v33, v29, v80 dst_sel:DWORD dst_unused:UNUSED_PAD src0_sel:WORD_0 src1_sel:DWORD
	v_add_co_u32 v30, vcc_lo, v26, v78
	v_add_co_ci_u32_e64 v31, null, 0, v27, vcc_lo
	s_clause 0x1
	global_load_ushort v26, v[26:27], off
	global_load_dword v27, v[30:31], off offset:2
	s_waitcnt vmcnt(1)
	v_mul_u32_u24_e32 v26, 0x10001, v26
	s_waitcnt vmcnt(0)
	v_pk_lshrrev_b16 v30, 8, v27 op_sel:[1,0] op_sel_hi:[0,0]
	v_pk_lshrrev_b16 v27, 8, v27 op_sel:[1,1] op_sel_hi:[0,1]
	v_lshrrev_b32_e32 v31, 16, v30
	v_cvt_f16_i16_sdwa v30, sext(v30) dst_sel:DWORD dst_unused:UNUSED_PAD src0_sel:BYTE_0
	v_cvt_f16_i16_sdwa v31, sext(v31) dst_sel:DWORD dst_unused:UNUSED_PAD src0_sel:BYTE_0
	v_pack_b32_f16 v30, v30, v31
	v_lshrrev_b32_e32 v31, 16, v27
	v_cvt_f16_i16_sdwa v27, sext(v27) dst_sel:DWORD dst_unused:UNUSED_PAD src0_sel:BYTE_0
	v_pk_mul_f16 v30, v30, v26
	v_cvt_f16_i16_sdwa v31, sext(v31) dst_sel:DWORD dst_unused:UNUSED_PAD src0_sel:BYTE_0
	v_pk_fma_f16 v151, v30, v33, v151
	v_pack_b32_f16 v27, v27, v31
	v_pk_mul_f16 v26, v27, v26
	v_pk_fma_f16 v152, v26, v33, v152
	v_add_co_u32 v26, vcc_lo, v149, v148
	v_add_co_ci_u32_e64 v27, null, v150, v146, vcc_lo
	v_add_co_u32 v30, vcc_lo, v26, v87
	v_add_co_ci_u32_e64 v31, null, 0, v27, vcc_lo
	s_clause 0x1
	global_load_ushort v26, v[26:27], off
	global_load_dword v27, v[30:31], off offset:2
	s_waitcnt vmcnt(1)
	v_mul_u32_u24_e32 v26, 0x10001, v26
	s_waitcnt vmcnt(0)
	v_pk_lshrrev_b16 v30, 8, v27 op_sel:[1,0] op_sel_hi:[0,0]
	v_pk_lshrrev_b16 v27, 8, v27 op_sel:[1,1] op_sel_hi:[0,1]
	v_lshrrev_b32_e32 v31, 16, v30
	v_cvt_f16_i16_sdwa v30, sext(v30) dst_sel:DWORD dst_unused:UNUSED_PAD src0_sel:BYTE_0
	v_cvt_f16_i16_sdwa v31, sext(v31) dst_sel:DWORD dst_unused:UNUSED_PAD src0_sel:BYTE_0
	v_pack_b32_f16 v30, v30, v31
	v_lshrrev_b32_e32 v31, 16, v27
	v_cvt_f16_i16_sdwa v27, sext(v27) dst_sel:DWORD dst_unused:UNUSED_PAD src0_sel:BYTE_0
	v_pk_mul_f16 v30, v30, v26
	v_cvt_f16_i16_sdwa v31, sext(v31) dst_sel:DWORD dst_unused:UNUSED_PAD src0_sel:BYTE_0
	v_pk_fma_f16 v30, v30, v33, v32
	v_pack_b32_f16 v27, v27, v31
	v_mul_u32_u24_sdwa v32, v29, v80 dst_sel:DWORD dst_unused:UNUSED_PAD src0_sel:WORD_1 src1_sel:DWORD
	v_pk_mul_f16 v26, v27, v26
	v_pk_fma_f16 v31, v26, v33, v28
	v_add_co_u32 v33, vcc_lo, s3, v99
	v_add_co_ci_u32_e64 v149, null, s19, v124, vcc_lo
	v_add_co_u32 v26, vcc_lo, v33, v147
	v_add_co_ci_u32_e64 v27, null, v149, v145, vcc_lo
	;; [unrolled: 2-line block ×3, first 2 shown]
	s_clause 0x1
	global_load_ushort v26, v[26:27], off
	global_load_dword v27, v[28:29], off offset:2
	s_waitcnt vmcnt(1)
	v_mul_u32_u24_e32 v26, 0x10001, v26
	s_waitcnt vmcnt(0)
	v_pk_lshrrev_b16 v28, 8, v27 op_sel:[1,0] op_sel_hi:[0,0]
	v_pk_lshrrev_b16 v27, 8, v27 op_sel:[1,1] op_sel_hi:[0,1]
	v_lshrrev_b32_e32 v29, 16, v28
	v_cvt_f16_i16_sdwa v28, sext(v28) dst_sel:DWORD dst_unused:UNUSED_PAD src0_sel:BYTE_0
	v_cvt_f16_i16_sdwa v29, sext(v29) dst_sel:DWORD dst_unused:UNUSED_PAD src0_sel:BYTE_0
	v_pack_b32_f16 v28, v28, v29
	v_lshrrev_b32_e32 v29, 16, v27
	v_cvt_f16_i16_sdwa v27, sext(v27) dst_sel:DWORD dst_unused:UNUSED_PAD src0_sel:BYTE_0
	v_pk_mul_f16 v28, v28, v26
	v_cvt_f16_i16_sdwa v29, sext(v29) dst_sel:DWORD dst_unused:UNUSED_PAD src0_sel:BYTE_0
	v_pk_fma_f16 v150, v28, v32, v151
	v_pack_b32_f16 v27, v27, v29
	v_pk_mul_f16 v26, v27, v26
	v_pk_fma_f16 v151, v26, v32, v152
	v_add_co_u32 v26, vcc_lo, v33, v148
	v_add_co_ci_u32_e64 v27, null, v149, v146, vcc_lo
	v_add_co_u32 v28, vcc_lo, v26, v87
	v_add_co_ci_u32_e64 v29, null, 0, v27, vcc_lo
	global_load_ushort v26, v[26:27], off
	v_add_co_u32 v33, vcc_lo, s3, v100
	global_load_dword v27, v[28:29], off offset:2
	v_add_co_ci_u32_e64 v149, null, s19, v125, vcc_lo
	s_waitcnt vmcnt(1)
	v_mul_u32_u24_e32 v26, 0x10001, v26
	s_waitcnt vmcnt(0)
	v_pk_lshrrev_b16 v28, 8, v27 op_sel:[1,0] op_sel_hi:[0,0]
	v_pk_lshrrev_b16 v27, 8, v27 op_sel:[1,1] op_sel_hi:[0,1]
	v_lshrrev_b32_e32 v29, 16, v28
	v_cvt_f16_i16_sdwa v28, sext(v28) dst_sel:DWORD dst_unused:UNUSED_PAD src0_sel:BYTE_0
	v_cvt_f16_i16_sdwa v29, sext(v29) dst_sel:DWORD dst_unused:UNUSED_PAD src0_sel:BYTE_0
	v_pack_b32_f16 v28, v28, v29
	v_lshrrev_b32_e32 v29, 16, v27
	v_cvt_f16_i16_sdwa v27, sext(v27) dst_sel:DWORD dst_unused:UNUSED_PAD src0_sel:BYTE_0
	v_pk_mul_f16 v28, v28, v26
	v_cvt_f16_i16_sdwa v29, sext(v29) dst_sel:DWORD dst_unused:UNUSED_PAD src0_sel:BYTE_0
	v_pk_fma_f16 v30, v28, v32, v30
	v_pack_b32_f16 v27, v27, v29
	v_pk_mul_f16 v26, v27, v26
	v_pk_fma_f16 v31, v26, v32, v31
	v_add_co_u32 v26, vcc_lo, v33, v147
	v_add_co_ci_u32_e64 v27, null, v149, v145, vcc_lo
	s_waitcnt lgkmcnt(1)
	v_mul_u32_u24_sdwa v32, v22, v80 dst_sel:DWORD dst_unused:UNUSED_PAD src0_sel:WORD_0 src1_sel:DWORD
	v_add_co_u32 v28, vcc_lo, v26, v78
	v_add_co_ci_u32_e64 v29, null, 0, v27, vcc_lo
	global_load_ushort v26, v[26:27], off
	v_mul_u32_u24_sdwa v22, v22, v80 dst_sel:DWORD dst_unused:UNUSED_PAD src0_sel:WORD_1 src1_sel:DWORD
	global_load_dword v27, v[28:29], off offset:2
	s_waitcnt vmcnt(1)
	v_mul_u32_u24_e32 v26, 0x10001, v26
	s_waitcnt vmcnt(0)
	v_pk_lshrrev_b16 v28, 8, v27 op_sel:[1,0] op_sel_hi:[0,0]
	v_pk_lshrrev_b16 v27, 8, v27 op_sel:[1,1] op_sel_hi:[0,1]
	v_lshrrev_b32_e32 v29, 16, v28
	v_cvt_f16_i16_sdwa v28, sext(v28) dst_sel:DWORD dst_unused:UNUSED_PAD src0_sel:BYTE_0
	v_cvt_f16_i16_sdwa v29, sext(v29) dst_sel:DWORD dst_unused:UNUSED_PAD src0_sel:BYTE_0
	v_pack_b32_f16 v28, v28, v29
	v_lshrrev_b32_e32 v29, 16, v27
	v_cvt_f16_i16_sdwa v27, sext(v27) dst_sel:DWORD dst_unused:UNUSED_PAD src0_sel:BYTE_0
	v_pk_mul_f16 v28, v28, v26
	v_cvt_f16_i16_sdwa v29, sext(v29) dst_sel:DWORD dst_unused:UNUSED_PAD src0_sel:BYTE_0
	v_pk_fma_f16 v150, v28, v32, v150
	v_pack_b32_f16 v27, v27, v29
	v_pk_mul_f16 v26, v27, v26
	v_pk_fma_f16 v151, v26, v32, v151
	v_add_co_u32 v26, vcc_lo, v33, v148
	v_add_co_ci_u32_e64 v27, null, v149, v146, vcc_lo
	v_add_co_u32 v28, vcc_lo, v26, v87
	v_add_co_ci_u32_e64 v29, null, 0, v27, vcc_lo
	s_clause 0x1
	global_load_ushort v26, v[26:27], off
	global_load_dword v27, v[28:29], off offset:2
	s_waitcnt vmcnt(1)
	v_mul_u32_u24_e32 v26, 0x10001, v26
	s_waitcnt vmcnt(0)
	v_pk_lshrrev_b16 v28, 8, v27 op_sel:[1,0] op_sel_hi:[0,0]
	v_pk_lshrrev_b16 v27, 8, v27 op_sel:[1,1] op_sel_hi:[0,1]
	v_lshrrev_b32_e32 v29, 16, v28
	v_cvt_f16_i16_sdwa v28, sext(v28) dst_sel:DWORD dst_unused:UNUSED_PAD src0_sel:BYTE_0
	v_cvt_f16_i16_sdwa v29, sext(v29) dst_sel:DWORD dst_unused:UNUSED_PAD src0_sel:BYTE_0
	v_pack_b32_f16 v28, v28, v29
	v_lshrrev_b32_e32 v29, 16, v27
	v_cvt_f16_i16_sdwa v27, sext(v27) dst_sel:DWORD dst_unused:UNUSED_PAD src0_sel:BYTE_0
	v_pk_mul_f16 v28, v28, v26
	v_cvt_f16_i16_sdwa v29, sext(v29) dst_sel:DWORD dst_unused:UNUSED_PAD src0_sel:BYTE_0
	v_pk_fma_f16 v30, v28, v32, v30
	v_pack_b32_f16 v27, v27, v29
	v_pk_mul_f16 v26, v27, v26
	v_pk_fma_f16 v31, v26, v32, v31
	v_add_co_u32 v32, vcc_lo, s3, v101
	v_add_co_ci_u32_e64 v33, null, s19, v126, vcc_lo
	v_add_co_u32 v26, vcc_lo, v32, v147
	v_add_co_ci_u32_e64 v27, null, v33, v145, vcc_lo
	;; [unrolled: 2-line block ×3, first 2 shown]
	s_clause 0x1
	global_load_ushort v26, v[26:27], off
	global_load_dword v27, v[28:29], off offset:2
	s_waitcnt vmcnt(1)
	v_mul_u32_u24_e32 v26, 0x10001, v26
	s_waitcnt vmcnt(0)
	v_pk_lshrrev_b16 v28, 8, v27 op_sel:[1,0] op_sel_hi:[0,0]
	v_pk_lshrrev_b16 v27, 8, v27 op_sel:[1,1] op_sel_hi:[0,1]
	v_lshrrev_b32_e32 v29, 16, v28
	v_cvt_f16_i16_sdwa v28, sext(v28) dst_sel:DWORD dst_unused:UNUSED_PAD src0_sel:BYTE_0
	v_cvt_f16_i16_sdwa v29, sext(v29) dst_sel:DWORD dst_unused:UNUSED_PAD src0_sel:BYTE_0
	v_pack_b32_f16 v28, v28, v29
	v_lshrrev_b32_e32 v29, 16, v27
	v_cvt_f16_i16_sdwa v27, sext(v27) dst_sel:DWORD dst_unused:UNUSED_PAD src0_sel:BYTE_0
	v_pk_mul_f16 v28, v28, v26
	v_cvt_f16_i16_sdwa v29, sext(v29) dst_sel:DWORD dst_unused:UNUSED_PAD src0_sel:BYTE_0
	v_pk_fma_f16 v149, v28, v22, v150
	v_pack_b32_f16 v27, v27, v29
	v_pk_mul_f16 v26, v27, v26
	v_pk_fma_f16 v150, v26, v22, v151
	v_add_co_u32 v26, vcc_lo, v32, v148
	v_add_co_ci_u32_e64 v27, null, v33, v146, vcc_lo
	v_add_co_u32 v28, vcc_lo, v26, v87
	v_add_co_ci_u32_e64 v29, null, 0, v27, vcc_lo
	global_load_ushort v26, v[26:27], off
	v_add_co_u32 v32, vcc_lo, s3, v103
	global_load_dword v27, v[28:29], off offset:2
	v_add_co_ci_u32_e64 v33, null, s19, v127, vcc_lo
	s_waitcnt vmcnt(1)
	v_mul_u32_u24_e32 v26, 0x10001, v26
	s_waitcnt vmcnt(0)
	v_pk_lshrrev_b16 v28, 8, v27 op_sel:[1,0] op_sel_hi:[0,0]
	v_pk_lshrrev_b16 v27, 8, v27 op_sel:[1,1] op_sel_hi:[0,1]
	v_lshrrev_b32_e32 v29, 16, v28
	v_cvt_f16_i16_sdwa v28, sext(v28) dst_sel:DWORD dst_unused:UNUSED_PAD src0_sel:BYTE_0
	v_cvt_f16_i16_sdwa v29, sext(v29) dst_sel:DWORD dst_unused:UNUSED_PAD src0_sel:BYTE_0
	v_pack_b32_f16 v28, v28, v29
	v_lshrrev_b32_e32 v29, 16, v27
	v_cvt_f16_i16_sdwa v27, sext(v27) dst_sel:DWORD dst_unused:UNUSED_PAD src0_sel:BYTE_0
	v_pk_mul_f16 v28, v28, v26
	v_cvt_f16_i16_sdwa v29, sext(v29) dst_sel:DWORD dst_unused:UNUSED_PAD src0_sel:BYTE_0
	v_pk_fma_f16 v30, v28, v22, v30
	v_pack_b32_f16 v27, v27, v29
	v_pk_mul_f16 v26, v27, v26
	v_pk_fma_f16 v22, v26, v22, v31
	v_add_co_u32 v26, vcc_lo, v32, v147
	v_add_co_ci_u32_e64 v27, null, v33, v145, vcc_lo
	v_mul_u32_u24_sdwa v31, v23, v80 dst_sel:DWORD dst_unused:UNUSED_PAD src0_sel:WORD_0 src1_sel:DWORD
	v_add_co_u32 v28, vcc_lo, v26, v78
	v_add_co_ci_u32_e64 v29, null, 0, v27, vcc_lo
	s_clause 0x1
	global_load_ushort v26, v[26:27], off
	global_load_dword v27, v[28:29], off offset:2
	s_waitcnt vmcnt(1)
	v_mul_u32_u24_e32 v26, 0x10001, v26
	s_waitcnt vmcnt(0)
	v_pk_lshrrev_b16 v28, 8, v27 op_sel:[1,0] op_sel_hi:[0,0]
	v_pk_lshrrev_b16 v27, 8, v27 op_sel:[1,1] op_sel_hi:[0,1]
	v_lshrrev_b32_e32 v29, 16, v28
	v_cvt_f16_i16_sdwa v28, sext(v28) dst_sel:DWORD dst_unused:UNUSED_PAD src0_sel:BYTE_0
	v_cvt_f16_i16_sdwa v29, sext(v29) dst_sel:DWORD dst_unused:UNUSED_PAD src0_sel:BYTE_0
	v_pack_b32_f16 v28, v28, v29
	v_lshrrev_b32_e32 v29, 16, v27
	v_cvt_f16_i16_sdwa v27, sext(v27) dst_sel:DWORD dst_unused:UNUSED_PAD src0_sel:BYTE_0
	v_pk_mul_f16 v28, v28, v26
	v_cvt_f16_i16_sdwa v29, sext(v29) dst_sel:DWORD dst_unused:UNUSED_PAD src0_sel:BYTE_0
	v_pk_fma_f16 v149, v28, v31, v149
	v_pack_b32_f16 v27, v27, v29
	v_pk_mul_f16 v26, v27, v26
	v_pk_fma_f16 v150, v26, v31, v150
	v_add_co_u32 v26, vcc_lo, v32, v148
	v_add_co_ci_u32_e64 v27, null, v33, v146, vcc_lo
	v_add_co_u32 v28, vcc_lo, v26, v87
	v_add_co_ci_u32_e64 v29, null, 0, v27, vcc_lo
	s_clause 0x1
	global_load_ushort v26, v[26:27], off
	global_load_dword v27, v[28:29], off offset:2
	s_waitcnt vmcnt(1)
	v_mul_u32_u24_e32 v26, 0x10001, v26
	s_waitcnt vmcnt(0)
	v_pk_lshrrev_b16 v28, 8, v27 op_sel:[1,0] op_sel_hi:[0,0]
	v_pk_lshrrev_b16 v27, 8, v27 op_sel:[1,1] op_sel_hi:[0,1]
	v_lshrrev_b32_e32 v29, 16, v28
	v_cvt_f16_i16_sdwa v28, sext(v28) dst_sel:DWORD dst_unused:UNUSED_PAD src0_sel:BYTE_0
	v_cvt_f16_i16_sdwa v29, sext(v29) dst_sel:DWORD dst_unused:UNUSED_PAD src0_sel:BYTE_0
	v_pack_b32_f16 v28, v28, v29
	v_lshrrev_b32_e32 v29, 16, v27
	v_cvt_f16_i16_sdwa v27, sext(v27) dst_sel:DWORD dst_unused:UNUSED_PAD src0_sel:BYTE_0
	v_pk_mul_f16 v28, v28, v26
	v_cvt_f16_i16_sdwa v29, sext(v29) dst_sel:DWORD dst_unused:UNUSED_PAD src0_sel:BYTE_0
	v_pack_b32_f16 v27, v27, v29
	v_pk_mul_f16 v27, v27, v26
	v_pk_fma_f16 v26, v28, v31, v30
	v_mul_u32_u24_sdwa v28, v23, v80 dst_sel:DWORD dst_unused:UNUSED_PAD src0_sel:WORD_1 src1_sel:DWORD
	v_pk_fma_f16 v27, v27, v31, v22
	v_add_co_u32 v31, vcc_lo, s3, v105
	v_add_co_ci_u32_e64 v32, null, s19, v129, vcc_lo
	v_add_co_u32 v22, vcc_lo, v31, v147
	v_add_co_ci_u32_e64 v23, null, v32, v145, vcc_lo
	v_add_co_u32 v29, vcc_lo, v22, v78
	v_add_co_ci_u32_e64 v30, null, 0, v23, vcc_lo
	s_clause 0x1
	global_load_ushort v22, v[22:23], off
	global_load_dword v23, v[29:30], off offset:2
	s_waitcnt vmcnt(1)
	v_mul_u32_u24_e32 v22, 0x10001, v22
	s_waitcnt vmcnt(0)
	v_pk_lshrrev_b16 v29, 8, v23 op_sel:[1,0] op_sel_hi:[0,0]
	v_pk_lshrrev_b16 v23, 8, v23 op_sel:[1,1] op_sel_hi:[0,1]
	v_lshrrev_b32_e32 v30, 16, v29
	v_cvt_f16_i16_sdwa v29, sext(v29) dst_sel:DWORD dst_unused:UNUSED_PAD src0_sel:BYTE_0
	v_cvt_f16_i16_sdwa v30, sext(v30) dst_sel:DWORD dst_unused:UNUSED_PAD src0_sel:BYTE_0
	v_pack_b32_f16 v29, v29, v30
	v_lshrrev_b32_e32 v30, 16, v23
	v_cvt_f16_i16_sdwa v23, sext(v23) dst_sel:DWORD dst_unused:UNUSED_PAD src0_sel:BYTE_0
	v_pk_mul_f16 v29, v29, v22
	v_cvt_f16_i16_sdwa v30, sext(v30) dst_sel:DWORD dst_unused:UNUSED_PAD src0_sel:BYTE_0
	v_pack_b32_f16 v23, v23, v30
	v_pk_mul_f16 v23, v23, v22
	v_pk_fma_f16 v22, v29, v28, v149
	v_add_co_u32 v29, vcc_lo, v31, v148
	v_add_co_ci_u32_e64 v30, null, v32, v146, vcc_lo
	v_pk_fma_f16 v23, v23, v28, v150
	v_add_co_u32 v31, vcc_lo, v29, v87
	v_add_co_ci_u32_e64 v32, null, 0, v30, vcc_lo
	global_load_ushort v29, v[29:30], off
	v_add_co_u32 v33, vcc_lo, s3, v106
	global_load_dword v30, v[31:32], off offset:2
	v_add_co_ci_u32_e64 v149, null, s19, v130, vcc_lo
	s_waitcnt vmcnt(1)
	v_mul_u32_u24_e32 v29, 0x10001, v29
	s_waitcnt vmcnt(0)
	v_pk_lshrrev_b16 v31, 8, v30 op_sel:[1,0] op_sel_hi:[0,0]
	v_pk_lshrrev_b16 v30, 8, v30 op_sel:[1,1] op_sel_hi:[0,1]
	v_lshrrev_b32_e32 v32, 16, v31
	v_cvt_f16_i16_sdwa v31, sext(v31) dst_sel:DWORD dst_unused:UNUSED_PAD src0_sel:BYTE_0
	v_cvt_f16_i16_sdwa v32, sext(v32) dst_sel:DWORD dst_unused:UNUSED_PAD src0_sel:BYTE_0
	v_pack_b32_f16 v31, v31, v32
	v_lshrrev_b32_e32 v32, 16, v30
	v_cvt_f16_i16_sdwa v30, sext(v30) dst_sel:DWORD dst_unused:UNUSED_PAD src0_sel:BYTE_0
	v_pk_mul_f16 v31, v31, v29
	v_cvt_f16_i16_sdwa v32, sext(v32) dst_sel:DWORD dst_unused:UNUSED_PAD src0_sel:BYTE_0
	v_pk_fma_f16 v26, v31, v28, v26
	v_pack_b32_f16 v30, v30, v32
	v_pk_mul_f16 v29, v30, v29
	v_pk_fma_f16 v27, v29, v28, v27
	v_add_co_u32 v29, vcc_lo, v33, v147
	v_add_co_ci_u32_e64 v30, null, v149, v145, vcc_lo
	v_mul_u32_u24_sdwa v28, v24, v80 dst_sel:DWORD dst_unused:UNUSED_PAD src0_sel:WORD_0 src1_sel:DWORD
	v_add_co_u32 v31, vcc_lo, v29, v78
	v_add_co_ci_u32_e64 v32, null, 0, v30, vcc_lo
	global_load_ushort v29, v[29:30], off
	v_mul_u32_u24_sdwa v24, v24, v80 dst_sel:DWORD dst_unused:UNUSED_PAD src0_sel:WORD_1 src1_sel:DWORD
	global_load_dword v30, v[31:32], off offset:2
	s_waitcnt vmcnt(1)
	v_mul_u32_u24_e32 v29, 0x10001, v29
	s_waitcnt vmcnt(0)
	v_pk_lshrrev_b16 v31, 8, v30 op_sel:[1,0] op_sel_hi:[0,0]
	v_pk_lshrrev_b16 v30, 8, v30 op_sel:[1,1] op_sel_hi:[0,1]
	v_lshrrev_b32_e32 v32, 16, v31
	v_cvt_f16_i16_sdwa v31, sext(v31) dst_sel:DWORD dst_unused:UNUSED_PAD src0_sel:BYTE_0
	v_cvt_f16_i16_sdwa v32, sext(v32) dst_sel:DWORD dst_unused:UNUSED_PAD src0_sel:BYTE_0
	v_pack_b32_f16 v31, v31, v32
	v_lshrrev_b32_e32 v32, 16, v30
	v_cvt_f16_i16_sdwa v30, sext(v30) dst_sel:DWORD dst_unused:UNUSED_PAD src0_sel:BYTE_0
	v_pk_mul_f16 v31, v31, v29
	v_cvt_f16_i16_sdwa v32, sext(v32) dst_sel:DWORD dst_unused:UNUSED_PAD src0_sel:BYTE_0
	v_pk_fma_f16 v22, v31, v28, v22
	v_pack_b32_f16 v30, v30, v32
	v_pk_mul_f16 v29, v30, v29
	v_pk_fma_f16 v23, v29, v28, v23
	v_add_co_u32 v29, vcc_lo, v33, v148
	v_add_co_ci_u32_e64 v30, null, v149, v146, vcc_lo
	v_add_co_u32 v31, vcc_lo, v29, v87
	v_add_co_ci_u32_e64 v32, null, 0, v30, vcc_lo
	s_clause 0x1
	global_load_ushort v29, v[29:30], off
	global_load_dword v30, v[31:32], off offset:2
	s_waitcnt vmcnt(1)
	v_mul_u32_u24_e32 v29, 0x10001, v29
	s_waitcnt vmcnt(0)
	v_pk_lshrrev_b16 v31, 8, v30 op_sel:[1,0] op_sel_hi:[0,0]
	v_pk_lshrrev_b16 v30, 8, v30 op_sel:[1,1] op_sel_hi:[0,1]
	v_lshrrev_b32_e32 v32, 16, v31
	v_cvt_f16_i16_sdwa v31, sext(v31) dst_sel:DWORD dst_unused:UNUSED_PAD src0_sel:BYTE_0
	v_cvt_f16_i16_sdwa v32, sext(v32) dst_sel:DWORD dst_unused:UNUSED_PAD src0_sel:BYTE_0
	v_pack_b32_f16 v31, v31, v32
	v_lshrrev_b32_e32 v32, 16, v30
	v_cvt_f16_i16_sdwa v30, sext(v30) dst_sel:DWORD dst_unused:UNUSED_PAD src0_sel:BYTE_0
	v_pk_mul_f16 v31, v31, v29
	v_cvt_f16_i16_sdwa v32, sext(v32) dst_sel:DWORD dst_unused:UNUSED_PAD src0_sel:BYTE_0
	v_pack_b32_f16 v30, v30, v32
	v_add_co_u32 v32, vcc_lo, s3, v109
	v_add_co_ci_u32_e64 v33, null, s19, v131, vcc_lo
	v_pk_mul_f16 v29, v30, v29
	v_pk_fma_f16 v30, v31, v28, v26
	v_add_co_u32 v26, vcc_lo, v32, v147
	v_pk_fma_f16 v31, v29, v28, v27
	v_add_co_ci_u32_e64 v27, null, v33, v145, vcc_lo
	v_add_co_u32 v28, vcc_lo, v26, v78
	v_add_co_ci_u32_e64 v29, null, 0, v27, vcc_lo
	s_clause 0x1
	global_load_ushort v26, v[26:27], off
	global_load_dword v27, v[28:29], off offset:2
	s_waitcnt vmcnt(1)
	v_mul_u32_u24_e32 v26, 0x10001, v26
	s_waitcnt vmcnt(0)
	v_pk_lshrrev_b16 v28, 8, v27 op_sel:[1,0] op_sel_hi:[0,0]
	v_pk_lshrrev_b16 v27, 8, v27 op_sel:[1,1] op_sel_hi:[0,1]
	v_lshrrev_b32_e32 v29, 16, v28
	v_cvt_f16_i16_sdwa v28, sext(v28) dst_sel:DWORD dst_unused:UNUSED_PAD src0_sel:BYTE_0
	v_cvt_f16_i16_sdwa v29, sext(v29) dst_sel:DWORD dst_unused:UNUSED_PAD src0_sel:BYTE_0
	v_pack_b32_f16 v28, v28, v29
	v_lshrrev_b32_e32 v29, 16, v27
	v_cvt_f16_i16_sdwa v27, sext(v27) dst_sel:DWORD dst_unused:UNUSED_PAD src0_sel:BYTE_0
	v_pk_mul_f16 v28, v28, v26
	v_cvt_f16_i16_sdwa v29, sext(v29) dst_sel:DWORD dst_unused:UNUSED_PAD src0_sel:BYTE_0
	v_pk_fma_f16 v28, v28, v24, v22
	v_pack_b32_f16 v27, v27, v29
	v_add_co_u32 v22, vcc_lo, v32, v148
	v_pk_mul_f16 v26, v27, v26
	v_pk_fma_f16 v29, v26, v24, v23
	v_add_co_ci_u32_e64 v23, null, v33, v146, vcc_lo
	v_add_co_u32 v26, vcc_lo, v22, v87
	v_add_co_ci_u32_e64 v27, null, 0, v23, vcc_lo
	global_load_ushort v22, v[22:23], off
	v_add_co_u32 v32, vcc_lo, s3, v110
	global_load_dword v23, v[26:27], off offset:2
	v_add_co_ci_u32_e64 v33, null, s19, v132, vcc_lo
	s_waitcnt vmcnt(1)
	v_mul_u32_u24_e32 v22, 0x10001, v22
	s_waitcnt vmcnt(0)
	v_pk_lshrrev_b16 v26, 8, v23 op_sel:[1,0] op_sel_hi:[0,0]
	v_pk_lshrrev_b16 v23, 8, v23 op_sel:[1,1] op_sel_hi:[0,1]
	v_lshrrev_b32_e32 v27, 16, v26
	v_cvt_f16_i16_sdwa v26, sext(v26) dst_sel:DWORD dst_unused:UNUSED_PAD src0_sel:BYTE_0
	v_cvt_f16_i16_sdwa v27, sext(v27) dst_sel:DWORD dst_unused:UNUSED_PAD src0_sel:BYTE_0
	v_pack_b32_f16 v26, v26, v27
	v_lshrrev_b32_e32 v27, 16, v23
	v_cvt_f16_i16_sdwa v23, sext(v23) dst_sel:DWORD dst_unused:UNUSED_PAD src0_sel:BYTE_0
	v_pk_mul_f16 v26, v26, v22
	v_cvt_f16_i16_sdwa v27, sext(v27) dst_sel:DWORD dst_unused:UNUSED_PAD src0_sel:BYTE_0
	v_pk_fma_f16 v30, v26, v24, v30
	v_pack_b32_f16 v23, v23, v27
	v_pk_mul_f16 v22, v23, v22
	v_pk_fma_f16 v24, v22, v24, v31
	v_add_co_u32 v22, vcc_lo, v32, v147
	v_add_co_ci_u32_e64 v23, null, v33, v145, vcc_lo
	v_mul_u32_u24_sdwa v31, v25, v80 dst_sel:DWORD dst_unused:UNUSED_PAD src0_sel:WORD_0 src1_sel:DWORD
	v_add_co_u32 v26, vcc_lo, v22, v78
	v_add_co_ci_u32_e64 v27, null, 0, v23, vcc_lo
	s_clause 0x1
	global_load_ushort v22, v[22:23], off
	global_load_dword v23, v[26:27], off offset:2
	s_waitcnt vmcnt(1)
	v_mul_u32_u24_e32 v22, 0x10001, v22
	s_waitcnt vmcnt(0)
	v_pk_lshrrev_b16 v26, 8, v23 op_sel:[1,0] op_sel_hi:[0,0]
	v_pk_lshrrev_b16 v23, 8, v23 op_sel:[1,1] op_sel_hi:[0,1]
	v_lshrrev_b32_e32 v27, 16, v26
	v_cvt_f16_i16_sdwa v26, sext(v26) dst_sel:DWORD dst_unused:UNUSED_PAD src0_sel:BYTE_0
	v_cvt_f16_i16_sdwa v27, sext(v27) dst_sel:DWORD dst_unused:UNUSED_PAD src0_sel:BYTE_0
	v_pack_b32_f16 v26, v26, v27
	v_lshrrev_b32_e32 v27, 16, v23
	v_cvt_f16_i16_sdwa v23, sext(v23) dst_sel:DWORD dst_unused:UNUSED_PAD src0_sel:BYTE_0
	v_pk_mul_f16 v26, v26, v22
	v_cvt_f16_i16_sdwa v27, sext(v27) dst_sel:DWORD dst_unused:UNUSED_PAD src0_sel:BYTE_0
	v_pk_fma_f16 v28, v26, v31, v28
	v_pack_b32_f16 v23, v23, v27
	v_pk_mul_f16 v22, v23, v22
	v_pk_fma_f16 v29, v22, v31, v29
	v_add_co_u32 v22, vcc_lo, v32, v148
	v_add_co_ci_u32_e64 v23, null, v33, v146, vcc_lo
	v_add_co_u32 v26, vcc_lo, v22, v87
	v_add_co_ci_u32_e64 v27, null, 0, v23, vcc_lo
	s_clause 0x1
	global_load_ushort v22, v[22:23], off
	global_load_dword v23, v[26:27], off offset:2
	s_waitcnt vmcnt(1)
	v_mul_u32_u24_e32 v22, 0x10001, v22
	s_waitcnt vmcnt(0)
	v_pk_lshrrev_b16 v26, 8, v23 op_sel:[1,0] op_sel_hi:[0,0]
	v_pk_lshrrev_b16 v23, 8, v23 op_sel:[1,1] op_sel_hi:[0,1]
	v_lshrrev_b32_e32 v27, 16, v26
	v_cvt_f16_i16_sdwa v26, sext(v26) dst_sel:DWORD dst_unused:UNUSED_PAD src0_sel:BYTE_0
	v_cvt_f16_i16_sdwa v27, sext(v27) dst_sel:DWORD dst_unused:UNUSED_PAD src0_sel:BYTE_0
	v_pack_b32_f16 v26, v26, v27
	v_lshrrev_b32_e32 v27, 16, v23
	v_cvt_f16_i16_sdwa v23, sext(v23) dst_sel:DWORD dst_unused:UNUSED_PAD src0_sel:BYTE_0
	v_pk_mul_f16 v26, v26, v22
	v_cvt_f16_i16_sdwa v27, sext(v27) dst_sel:DWORD dst_unused:UNUSED_PAD src0_sel:BYTE_0
	v_pk_fma_f16 v26, v26, v31, v30
	v_pack_b32_f16 v23, v23, v27
	v_mul_u32_u24_sdwa v30, v25, v80 dst_sel:DWORD dst_unused:UNUSED_PAD src0_sel:WORD_1 src1_sel:DWORD
	v_pk_mul_f16 v22, v23, v22
	v_pk_fma_f16 v27, v22, v31, v24
	v_add_co_u32 v31, vcc_lo, s3, v112
	v_add_co_ci_u32_e64 v32, null, s19, v134, vcc_lo
	v_add_co_u32 v22, vcc_lo, v31, v147
	v_add_co_ci_u32_e64 v23, null, v32, v145, vcc_lo
	;; [unrolled: 2-line block ×3, first 2 shown]
	s_clause 0x1
	global_load_ushort v22, v[22:23], off
	global_load_dword v23, v[24:25], off offset:2
	s_waitcnt vmcnt(1)
	v_mul_u32_u24_e32 v22, 0x10001, v22
	s_waitcnt vmcnt(0)
	v_pk_lshrrev_b16 v24, 8, v23 op_sel:[1,0] op_sel_hi:[0,0]
	v_pk_lshrrev_b16 v23, 8, v23 op_sel:[1,1] op_sel_hi:[0,1]
	v_lshrrev_b32_e32 v25, 16, v24
	v_cvt_f16_i16_sdwa v24, sext(v24) dst_sel:DWORD dst_unused:UNUSED_PAD src0_sel:BYTE_0
	v_cvt_f16_i16_sdwa v25, sext(v25) dst_sel:DWORD dst_unused:UNUSED_PAD src0_sel:BYTE_0
	v_pack_b32_f16 v24, v24, v25
	v_lshrrev_b32_e32 v25, 16, v23
	v_cvt_f16_i16_sdwa v23, sext(v23) dst_sel:DWORD dst_unused:UNUSED_PAD src0_sel:BYTE_0
	v_pk_mul_f16 v24, v24, v22
	v_cvt_f16_i16_sdwa v25, sext(v25) dst_sel:DWORD dst_unused:UNUSED_PAD src0_sel:BYTE_0
	v_pk_fma_f16 v28, v24, v30, v28
	v_pack_b32_f16 v23, v23, v25
	v_pk_mul_f16 v22, v23, v22
	v_pk_fma_f16 v29, v22, v30, v29
	v_add_co_u32 v22, vcc_lo, v31, v148
	v_add_co_ci_u32_e64 v23, null, v32, v146, vcc_lo
	v_add_co_u32 v24, vcc_lo, v22, v87
	v_add_co_ci_u32_e64 v25, null, 0, v23, vcc_lo
	global_load_ushort v22, v[22:23], off
	v_add_co_u32 v31, vcc_lo, s3, v113
	global_load_dword v23, v[24:25], off offset:2
	v_add_co_ci_u32_e64 v32, null, s19, v135, vcc_lo
	s_waitcnt vmcnt(1)
	v_mul_u32_u24_e32 v22, 0x10001, v22
	s_waitcnt vmcnt(0)
	v_pk_lshrrev_b16 v24, 8, v23 op_sel:[1,0] op_sel_hi:[0,0]
	v_pk_lshrrev_b16 v23, 8, v23 op_sel:[1,1] op_sel_hi:[0,1]
	v_lshrrev_b32_e32 v25, 16, v24
	v_cvt_f16_i16_sdwa v24, sext(v24) dst_sel:DWORD dst_unused:UNUSED_PAD src0_sel:BYTE_0
	v_cvt_f16_i16_sdwa v25, sext(v25) dst_sel:DWORD dst_unused:UNUSED_PAD src0_sel:BYTE_0
	v_pack_b32_f16 v24, v24, v25
	v_lshrrev_b32_e32 v25, 16, v23
	v_cvt_f16_i16_sdwa v23, sext(v23) dst_sel:DWORD dst_unused:UNUSED_PAD src0_sel:BYTE_0
	v_pk_mul_f16 v24, v24, v22
	v_cvt_f16_i16_sdwa v25, sext(v25) dst_sel:DWORD dst_unused:UNUSED_PAD src0_sel:BYTE_0
	v_pk_fma_f16 v26, v24, v30, v26
	v_pack_b32_f16 v23, v23, v25
	v_pk_mul_f16 v22, v23, v22
	v_pk_fma_f16 v27, v22, v30, v27
	v_add_co_u32 v22, vcc_lo, v31, v147
	v_add_co_ci_u32_e64 v23, null, v32, v145, vcc_lo
	s_waitcnt lgkmcnt(0)
	v_mul_u32_u24_sdwa v30, v18, v80 dst_sel:DWORD dst_unused:UNUSED_PAD src0_sel:WORD_0 src1_sel:DWORD
	v_add_co_u32 v24, vcc_lo, v22, v78
	v_add_co_ci_u32_e64 v25, null, 0, v23, vcc_lo
	global_load_ushort v22, v[22:23], off
	v_mul_u32_u24_sdwa v18, v18, v80 dst_sel:DWORD dst_unused:UNUSED_PAD src0_sel:WORD_1 src1_sel:DWORD
	global_load_dword v23, v[24:25], off offset:2
	s_waitcnt vmcnt(1)
	v_mul_u32_u24_e32 v22, 0x10001, v22
	s_waitcnt vmcnt(0)
	v_pk_lshrrev_b16 v24, 8, v23 op_sel:[1,0] op_sel_hi:[0,0]
	v_pk_lshrrev_b16 v23, 8, v23 op_sel:[1,1] op_sel_hi:[0,1]
	v_lshrrev_b32_e32 v25, 16, v24
	v_cvt_f16_i16_sdwa v24, sext(v24) dst_sel:DWORD dst_unused:UNUSED_PAD src0_sel:BYTE_0
	v_cvt_f16_i16_sdwa v25, sext(v25) dst_sel:DWORD dst_unused:UNUSED_PAD src0_sel:BYTE_0
	v_pack_b32_f16 v24, v24, v25
	v_lshrrev_b32_e32 v25, 16, v23
	v_cvt_f16_i16_sdwa v23, sext(v23) dst_sel:DWORD dst_unused:UNUSED_PAD src0_sel:BYTE_0
	v_pk_mul_f16 v24, v24, v22
	v_cvt_f16_i16_sdwa v25, sext(v25) dst_sel:DWORD dst_unused:UNUSED_PAD src0_sel:BYTE_0
	v_pk_fma_f16 v28, v24, v30, v28
	v_pack_b32_f16 v23, v23, v25
	v_pk_mul_f16 v22, v23, v22
	v_pk_fma_f16 v29, v22, v30, v29
	v_add_co_u32 v22, vcc_lo, v31, v148
	v_add_co_ci_u32_e64 v23, null, v32, v146, vcc_lo
	v_add_co_u32 v24, vcc_lo, v22, v87
	v_add_co_ci_u32_e64 v25, null, 0, v23, vcc_lo
	s_clause 0x1
	global_load_ushort v22, v[22:23], off
	global_load_dword v23, v[24:25], off offset:2
	s_waitcnt vmcnt(1)
	v_mul_u32_u24_e32 v22, 0x10001, v22
	s_waitcnt vmcnt(0)
	v_pk_lshrrev_b16 v24, 8, v23 op_sel:[1,0] op_sel_hi:[0,0]
	v_pk_lshrrev_b16 v23, 8, v23 op_sel:[1,1] op_sel_hi:[0,1]
	v_lshrrev_b32_e32 v25, 16, v24
	v_cvt_f16_i16_sdwa v24, sext(v24) dst_sel:DWORD dst_unused:UNUSED_PAD src0_sel:BYTE_0
	v_cvt_f16_i16_sdwa v25, sext(v25) dst_sel:DWORD dst_unused:UNUSED_PAD src0_sel:BYTE_0
	v_pack_b32_f16 v24, v24, v25
	v_lshrrev_b32_e32 v25, 16, v23
	v_cvt_f16_i16_sdwa v23, sext(v23) dst_sel:DWORD dst_unused:UNUSED_PAD src0_sel:BYTE_0
	v_pk_mul_f16 v24, v24, v22
	v_cvt_f16_i16_sdwa v25, sext(v25) dst_sel:DWORD dst_unused:UNUSED_PAD src0_sel:BYTE_0
	v_pk_fma_f16 v26, v24, v30, v26
	v_pack_b32_f16 v23, v23, v25
	v_pk_mul_f16 v22, v23, v22
	v_pk_fma_f16 v27, v22, v30, v27
	v_add_co_u32 v30, vcc_lo, s3, v116
	v_add_co_ci_u32_e64 v31, null, s19, v136, vcc_lo
	v_add_co_u32 v22, vcc_lo, v30, v147
	v_add_co_ci_u32_e64 v23, null, v31, v145, vcc_lo
	;; [unrolled: 2-line block ×3, first 2 shown]
	s_clause 0x1
	global_load_ushort v22, v[22:23], off
	global_load_dword v23, v[24:25], off offset:2
	s_waitcnt vmcnt(1)
	v_mul_u32_u24_e32 v22, 0x10001, v22
	s_waitcnt vmcnt(0)
	v_pk_lshrrev_b16 v24, 8, v23 op_sel:[1,0] op_sel_hi:[0,0]
	v_pk_lshrrev_b16 v23, 8, v23 op_sel:[1,1] op_sel_hi:[0,1]
	v_lshrrev_b32_e32 v25, 16, v24
	v_cvt_f16_i16_sdwa v24, sext(v24) dst_sel:DWORD dst_unused:UNUSED_PAD src0_sel:BYTE_0
	v_cvt_f16_i16_sdwa v25, sext(v25) dst_sel:DWORD dst_unused:UNUSED_PAD src0_sel:BYTE_0
	v_pack_b32_f16 v24, v24, v25
	v_lshrrev_b32_e32 v25, 16, v23
	v_cvt_f16_i16_sdwa v23, sext(v23) dst_sel:DWORD dst_unused:UNUSED_PAD src0_sel:BYTE_0
	v_pk_mul_f16 v24, v24, v22
	v_cvt_f16_i16_sdwa v25, sext(v25) dst_sel:DWORD dst_unused:UNUSED_PAD src0_sel:BYTE_0
	v_pk_fma_f16 v28, v24, v18, v28
	v_pack_b32_f16 v23, v23, v25
	v_pk_mul_f16 v22, v23, v22
	v_pk_fma_f16 v29, v22, v18, v29
	v_add_co_u32 v22, vcc_lo, v30, v148
	v_add_co_ci_u32_e64 v23, null, v31, v146, vcc_lo
	v_add_co_u32 v24, vcc_lo, v22, v87
	v_add_co_ci_u32_e64 v25, null, 0, v23, vcc_lo
	global_load_ushort v22, v[22:23], off
	v_add_co_u32 v30, vcc_lo, s3, v117
	global_load_dword v23, v[24:25], off offset:2
	v_add_co_ci_u32_e64 v31, null, s19, v137, vcc_lo
	s_waitcnt vmcnt(1)
	v_mul_u32_u24_e32 v22, 0x10001, v22
	s_waitcnt vmcnt(0)
	v_pk_lshrrev_b16 v24, 8, v23 op_sel:[1,0] op_sel_hi:[0,0]
	v_pk_lshrrev_b16 v23, 8, v23 op_sel:[1,1] op_sel_hi:[0,1]
	v_lshrrev_b32_e32 v25, 16, v24
	v_cvt_f16_i16_sdwa v24, sext(v24) dst_sel:DWORD dst_unused:UNUSED_PAD src0_sel:BYTE_0
	v_cvt_f16_i16_sdwa v25, sext(v25) dst_sel:DWORD dst_unused:UNUSED_PAD src0_sel:BYTE_0
	v_pack_b32_f16 v24, v24, v25
	v_lshrrev_b32_e32 v25, 16, v23
	v_cvt_f16_i16_sdwa v23, sext(v23) dst_sel:DWORD dst_unused:UNUSED_PAD src0_sel:BYTE_0
	v_pk_mul_f16 v24, v24, v22
	v_cvt_f16_i16_sdwa v25, sext(v25) dst_sel:DWORD dst_unused:UNUSED_PAD src0_sel:BYTE_0
	v_pk_fma_f16 v26, v24, v18, v26
	v_pack_b32_f16 v23, v23, v25
	v_pk_mul_f16 v22, v23, v22
	v_pk_fma_f16 v18, v22, v18, v27
	v_add_co_u32 v22, vcc_lo, v30, v147
	v_add_co_ci_u32_e64 v23, null, v31, v145, vcc_lo
	v_mul_u32_u24_sdwa v27, v19, v80 dst_sel:DWORD dst_unused:UNUSED_PAD src0_sel:WORD_0 src1_sel:DWORD
	v_add_co_u32 v24, vcc_lo, v22, v78
	v_add_co_ci_u32_e64 v25, null, 0, v23, vcc_lo
	s_clause 0x1
	global_load_ushort v22, v[22:23], off
	global_load_dword v23, v[24:25], off offset:2
	s_waitcnt vmcnt(1)
	v_mul_u32_u24_e32 v22, 0x10001, v22
	s_waitcnt vmcnt(0)
	v_pk_lshrrev_b16 v24, 8, v23 op_sel:[1,0] op_sel_hi:[0,0]
	v_pk_lshrrev_b16 v23, 8, v23 op_sel:[1,1] op_sel_hi:[0,1]
	v_lshrrev_b32_e32 v25, 16, v24
	v_cvt_f16_i16_sdwa v24, sext(v24) dst_sel:DWORD dst_unused:UNUSED_PAD src0_sel:BYTE_0
	v_cvt_f16_i16_sdwa v25, sext(v25) dst_sel:DWORD dst_unused:UNUSED_PAD src0_sel:BYTE_0
	v_pack_b32_f16 v24, v24, v25
	v_lshrrev_b32_e32 v25, 16, v23
	v_cvt_f16_i16_sdwa v23, sext(v23) dst_sel:DWORD dst_unused:UNUSED_PAD src0_sel:BYTE_0
	v_pk_mul_f16 v24, v24, v22
	v_cvt_f16_i16_sdwa v25, sext(v25) dst_sel:DWORD dst_unused:UNUSED_PAD src0_sel:BYTE_0
	v_pk_fma_f16 v28, v24, v27, v28
	v_pack_b32_f16 v23, v23, v25
	v_pk_mul_f16 v22, v23, v22
	v_pk_fma_f16 v29, v22, v27, v29
	v_add_co_u32 v22, vcc_lo, v30, v148
	v_add_co_ci_u32_e64 v23, null, v31, v146, vcc_lo
	v_add_co_u32 v24, vcc_lo, v22, v87
	v_add_co_ci_u32_e64 v25, null, 0, v23, vcc_lo
	s_clause 0x1
	global_load_ushort v22, v[22:23], off
	global_load_dword v23, v[24:25], off offset:2
	s_waitcnt vmcnt(1)
	v_mul_u32_u24_e32 v22, 0x10001, v22
	s_waitcnt vmcnt(0)
	v_pk_lshrrev_b16 v24, 8, v23 op_sel:[1,0] op_sel_hi:[0,0]
	v_pk_lshrrev_b16 v23, 8, v23 op_sel:[1,1] op_sel_hi:[0,1]
	v_lshrrev_b32_e32 v25, 16, v24
	v_cvt_f16_i16_sdwa v24, sext(v24) dst_sel:DWORD dst_unused:UNUSED_PAD src0_sel:BYTE_0
	v_cvt_f16_i16_sdwa v25, sext(v25) dst_sel:DWORD dst_unused:UNUSED_PAD src0_sel:BYTE_0
	v_pack_b32_f16 v24, v24, v25
	v_lshrrev_b32_e32 v25, 16, v23
	v_cvt_f16_i16_sdwa v23, sext(v23) dst_sel:DWORD dst_unused:UNUSED_PAD src0_sel:BYTE_0
	v_pk_mul_f16 v24, v24, v22
	v_cvt_f16_i16_sdwa v25, sext(v25) dst_sel:DWORD dst_unused:UNUSED_PAD src0_sel:BYTE_0
	v_pk_fma_f16 v24, v24, v27, v26
	v_pack_b32_f16 v23, v23, v25
	v_mul_u32_u24_sdwa v26, v19, v80 dst_sel:DWORD dst_unused:UNUSED_PAD src0_sel:WORD_1 src1_sel:DWORD
	v_pk_mul_f16 v22, v23, v22
	v_pk_fma_f16 v25, v22, v27, v18
	v_add_co_u32 v27, vcc_lo, s3, v119
	v_add_co_ci_u32_e64 v30, null, s19, v139, vcc_lo
	v_add_co_u32 v18, vcc_lo, v27, v147
	v_add_co_ci_u32_e64 v19, null, v30, v145, vcc_lo
	;; [unrolled: 2-line block ×3, first 2 shown]
	s_clause 0x1
	global_load_ushort v18, v[18:19], off
	global_load_dword v19, v[22:23], off offset:2
	s_waitcnt vmcnt(1)
	v_mul_u32_u24_e32 v18, 0x10001, v18
	s_waitcnt vmcnt(0)
	v_pk_lshrrev_b16 v22, 8, v19 op_sel:[1,0] op_sel_hi:[0,0]
	v_pk_lshrrev_b16 v19, 8, v19 op_sel:[1,1] op_sel_hi:[0,1]
	v_lshrrev_b32_e32 v23, 16, v22
	v_cvt_f16_i16_sdwa v22, sext(v22) dst_sel:DWORD dst_unused:UNUSED_PAD src0_sel:BYTE_0
	v_cvt_f16_i16_sdwa v23, sext(v23) dst_sel:DWORD dst_unused:UNUSED_PAD src0_sel:BYTE_0
	v_pack_b32_f16 v22, v22, v23
	v_lshrrev_b32_e32 v23, 16, v19
	v_cvt_f16_i16_sdwa v19, sext(v19) dst_sel:DWORD dst_unused:UNUSED_PAD src0_sel:BYTE_0
	v_pk_mul_f16 v22, v22, v18
	v_cvt_f16_i16_sdwa v23, sext(v23) dst_sel:DWORD dst_unused:UNUSED_PAD src0_sel:BYTE_0
	v_pk_fma_f16 v28, v22, v26, v28
	v_pack_b32_f16 v19, v19, v23
	v_pk_mul_f16 v18, v19, v18
	v_pk_fma_f16 v29, v18, v26, v29
	v_add_co_u32 v18, vcc_lo, v27, v148
	v_add_co_ci_u32_e64 v19, null, v30, v146, vcc_lo
	v_add_co_u32 v22, vcc_lo, v18, v87
	v_add_co_ci_u32_e64 v23, null, 0, v19, vcc_lo
	global_load_ushort v18, v[18:19], off
	v_add_co_u32 v27, vcc_lo, s3, v123
	global_load_dword v19, v[22:23], off offset:2
	v_add_co_ci_u32_e64 v30, null, s19, v140, vcc_lo
	s_waitcnt vmcnt(1)
	v_mul_u32_u24_e32 v18, 0x10001, v18
	s_waitcnt vmcnt(0)
	v_pk_lshrrev_b16 v22, 8, v19 op_sel:[1,0] op_sel_hi:[0,0]
	v_pk_lshrrev_b16 v19, 8, v19 op_sel:[1,1] op_sel_hi:[0,1]
	v_lshrrev_b32_e32 v23, 16, v22
	v_cvt_f16_i16_sdwa v22, sext(v22) dst_sel:DWORD dst_unused:UNUSED_PAD src0_sel:BYTE_0
	v_cvt_f16_i16_sdwa v23, sext(v23) dst_sel:DWORD dst_unused:UNUSED_PAD src0_sel:BYTE_0
	v_pack_b32_f16 v22, v22, v23
	v_lshrrev_b32_e32 v23, 16, v19
	v_cvt_f16_i16_sdwa v19, sext(v19) dst_sel:DWORD dst_unused:UNUSED_PAD src0_sel:BYTE_0
	v_pk_mul_f16 v22, v22, v18
	v_cvt_f16_i16_sdwa v23, sext(v23) dst_sel:DWORD dst_unused:UNUSED_PAD src0_sel:BYTE_0
	v_pk_fma_f16 v24, v22, v26, v24
	v_pack_b32_f16 v19, v19, v23
	v_pk_mul_f16 v18, v19, v18
	v_pk_fma_f16 v25, v18, v26, v25
	v_add_co_u32 v18, vcc_lo, v27, v147
	v_add_co_ci_u32_e64 v19, null, v30, v145, vcc_lo
	v_mul_u32_u24_sdwa v26, v20, v80 dst_sel:DWORD dst_unused:UNUSED_PAD src0_sel:WORD_0 src1_sel:DWORD
	v_add_co_u32 v22, vcc_lo, v18, v78
	v_add_co_ci_u32_e64 v23, null, 0, v19, vcc_lo
	global_load_ushort v18, v[18:19], off
	v_mul_u32_u24_sdwa v20, v20, v80 dst_sel:DWORD dst_unused:UNUSED_PAD src0_sel:WORD_1 src1_sel:DWORD
	global_load_dword v19, v[22:23], off offset:2
	s_waitcnt vmcnt(1)
	v_mul_u32_u24_e32 v18, 0x10001, v18
	s_waitcnt vmcnt(0)
	v_pk_lshrrev_b16 v22, 8, v19 op_sel:[1,0] op_sel_hi:[0,0]
	v_pk_lshrrev_b16 v19, 8, v19 op_sel:[1,1] op_sel_hi:[0,1]
	v_lshrrev_b32_e32 v23, 16, v22
	v_cvt_f16_i16_sdwa v22, sext(v22) dst_sel:DWORD dst_unused:UNUSED_PAD src0_sel:BYTE_0
	v_cvt_f16_i16_sdwa v23, sext(v23) dst_sel:DWORD dst_unused:UNUSED_PAD src0_sel:BYTE_0
	v_pack_b32_f16 v22, v22, v23
	v_lshrrev_b32_e32 v23, 16, v19
	v_cvt_f16_i16_sdwa v19, sext(v19) dst_sel:DWORD dst_unused:UNUSED_PAD src0_sel:BYTE_0
	v_pk_mul_f16 v22, v22, v18
	v_cvt_f16_i16_sdwa v23, sext(v23) dst_sel:DWORD dst_unused:UNUSED_PAD src0_sel:BYTE_0
	v_pk_fma_f16 v28, v22, v26, v28
	v_pack_b32_f16 v19, v19, v23
	v_pk_mul_f16 v18, v19, v18
	v_pk_fma_f16 v29, v18, v26, v29
	v_add_co_u32 v18, vcc_lo, v27, v148
	v_add_co_ci_u32_e64 v19, null, v30, v146, vcc_lo
	v_add_co_u32 v22, vcc_lo, v18, v87
	v_add_co_ci_u32_e64 v23, null, 0, v19, vcc_lo
	s_clause 0x1
	global_load_ushort v18, v[18:19], off
	global_load_dword v19, v[22:23], off offset:2
	s_waitcnt vmcnt(1)
	v_mul_u32_u24_e32 v18, 0x10001, v18
	s_waitcnt vmcnt(0)
	v_pk_lshrrev_b16 v22, 8, v19 op_sel:[1,0] op_sel_hi:[0,0]
	v_pk_lshrrev_b16 v19, 8, v19 op_sel:[1,1] op_sel_hi:[0,1]
	v_lshrrev_b32_e32 v23, 16, v22
	v_cvt_f16_i16_sdwa v22, sext(v22) dst_sel:DWORD dst_unused:UNUSED_PAD src0_sel:BYTE_0
	v_cvt_f16_i16_sdwa v23, sext(v23) dst_sel:DWORD dst_unused:UNUSED_PAD src0_sel:BYTE_0
	v_pack_b32_f16 v22, v22, v23
	v_lshrrev_b32_e32 v23, 16, v19
	v_cvt_f16_i16_sdwa v19, sext(v19) dst_sel:DWORD dst_unused:UNUSED_PAD src0_sel:BYTE_0
	v_pk_mul_f16 v22, v22, v18
	v_cvt_f16_i16_sdwa v23, sext(v23) dst_sel:DWORD dst_unused:UNUSED_PAD src0_sel:BYTE_0
	v_pk_fma_f16 v24, v22, v26, v24
	v_pack_b32_f16 v19, v19, v23
	v_pk_mul_f16 v18, v19, v18
	v_pk_fma_f16 v25, v18, v26, v25
	v_add_co_u32 v26, vcc_lo, s3, v128
	v_add_co_ci_u32_e64 v27, null, s19, v141, vcc_lo
	v_add_co_u32 v18, vcc_lo, v26, v147
	v_add_co_ci_u32_e64 v19, null, v27, v145, vcc_lo
	;; [unrolled: 2-line block ×3, first 2 shown]
	s_clause 0x1
	global_load_ushort v18, v[18:19], off
	global_load_dword v19, v[22:23], off offset:2
	s_waitcnt vmcnt(1)
	v_mul_u32_u24_e32 v18, 0x10001, v18
	s_waitcnt vmcnt(0)
	v_pk_lshrrev_b16 v22, 8, v19 op_sel:[1,0] op_sel_hi:[0,0]
	v_pk_lshrrev_b16 v19, 8, v19 op_sel:[1,1] op_sel_hi:[0,1]
	v_lshrrev_b32_e32 v23, 16, v22
	v_cvt_f16_i16_sdwa v22, sext(v22) dst_sel:DWORD dst_unused:UNUSED_PAD src0_sel:BYTE_0
	v_cvt_f16_i16_sdwa v23, sext(v23) dst_sel:DWORD dst_unused:UNUSED_PAD src0_sel:BYTE_0
	v_pack_b32_f16 v22, v22, v23
	v_lshrrev_b32_e32 v23, 16, v19
	v_cvt_f16_i16_sdwa v19, sext(v19) dst_sel:DWORD dst_unused:UNUSED_PAD src0_sel:BYTE_0
	v_pk_mul_f16 v22, v22, v18
	v_cvt_f16_i16_sdwa v23, sext(v23) dst_sel:DWORD dst_unused:UNUSED_PAD src0_sel:BYTE_0
	v_pk_fma_f16 v28, v22, v20, v28
	v_pack_b32_f16 v19, v19, v23
	v_pk_mul_f16 v18, v19, v18
	v_pk_fma_f16 v29, v18, v20, v29
	v_add_co_u32 v18, vcc_lo, v26, v148
	v_add_co_ci_u32_e64 v19, null, v27, v146, vcc_lo
	v_add_co_u32 v22, vcc_lo, v18, v87
	v_add_co_ci_u32_e64 v23, null, 0, v19, vcc_lo
	global_load_ushort v18, v[18:19], off
	v_add_co_u32 v26, vcc_lo, s3, v133
	global_load_dword v19, v[22:23], off offset:2
	v_add_co_ci_u32_e64 v27, null, s19, v142, vcc_lo
	s_waitcnt vmcnt(1)
	v_mul_u32_u24_e32 v18, 0x10001, v18
	s_waitcnt vmcnt(0)
	v_pk_lshrrev_b16 v22, 8, v19 op_sel:[1,0] op_sel_hi:[0,0]
	v_pk_lshrrev_b16 v19, 8, v19 op_sel:[1,1] op_sel_hi:[0,1]
	v_lshrrev_b32_e32 v23, 16, v22
	v_cvt_f16_i16_sdwa v22, sext(v22) dst_sel:DWORD dst_unused:UNUSED_PAD src0_sel:BYTE_0
	v_cvt_f16_i16_sdwa v23, sext(v23) dst_sel:DWORD dst_unused:UNUSED_PAD src0_sel:BYTE_0
	v_pack_b32_f16 v22, v22, v23
	v_lshrrev_b32_e32 v23, 16, v19
	v_cvt_f16_i16_sdwa v19, sext(v19) dst_sel:DWORD dst_unused:UNUSED_PAD src0_sel:BYTE_0
	v_pk_mul_f16 v22, v22, v18
	v_cvt_f16_i16_sdwa v23, sext(v23) dst_sel:DWORD dst_unused:UNUSED_PAD src0_sel:BYTE_0
	v_pk_fma_f16 v24, v22, v20, v24
	v_pack_b32_f16 v19, v19, v23
	v_pk_mul_f16 v18, v19, v18
	v_pk_fma_f16 v20, v18, v20, v25
	v_add_co_u32 v18, vcc_lo, v26, v147
	v_add_co_ci_u32_e64 v19, null, v27, v145, vcc_lo
	v_mul_u32_u24_sdwa v25, v21, v80 dst_sel:DWORD dst_unused:UNUSED_PAD src0_sel:WORD_0 src1_sel:DWORD
	v_add_co_u32 v22, vcc_lo, v18, v78
	v_add_co_ci_u32_e64 v23, null, 0, v19, vcc_lo
	s_clause 0x1
	global_load_ushort v18, v[18:19], off
	global_load_dword v19, v[22:23], off offset:2
	s_waitcnt vmcnt(1)
	v_mul_u32_u24_e32 v18, 0x10001, v18
	s_waitcnt vmcnt(0)
	v_pk_lshrrev_b16 v22, 8, v19 op_sel:[1,0] op_sel_hi:[0,0]
	v_pk_lshrrev_b16 v19, 8, v19 op_sel:[1,1] op_sel_hi:[0,1]
	v_lshrrev_b32_e32 v23, 16, v22
	v_cvt_f16_i16_sdwa v22, sext(v22) dst_sel:DWORD dst_unused:UNUSED_PAD src0_sel:BYTE_0
	v_cvt_f16_i16_sdwa v23, sext(v23) dst_sel:DWORD dst_unused:UNUSED_PAD src0_sel:BYTE_0
	v_pack_b32_f16 v22, v22, v23
	v_lshrrev_b32_e32 v23, 16, v19
	v_cvt_f16_i16_sdwa v19, sext(v19) dst_sel:DWORD dst_unused:UNUSED_PAD src0_sel:BYTE_0
	v_pk_mul_f16 v22, v22, v18
	v_cvt_f16_i16_sdwa v23, sext(v23) dst_sel:DWORD dst_unused:UNUSED_PAD src0_sel:BYTE_0
	v_pk_fma_f16 v28, v22, v25, v28
	v_pack_b32_f16 v19, v19, v23
	v_pk_mul_f16 v18, v19, v18
	v_pk_fma_f16 v29, v18, v25, v29
	v_add_co_u32 v18, vcc_lo, v26, v148
	v_add_co_ci_u32_e64 v19, null, v27, v146, vcc_lo
	v_add_co_u32 v22, vcc_lo, v18, v87
	v_add_co_ci_u32_e64 v23, null, 0, v19, vcc_lo
	s_clause 0x1
	global_load_ushort v18, v[18:19], off
	global_load_dword v19, v[22:23], off offset:2
	s_waitcnt vmcnt(1)
	v_mul_u32_u24_e32 v18, 0x10001, v18
	s_waitcnt vmcnt(0)
	v_pk_lshrrev_b16 v22, 8, v19 op_sel:[1,0] op_sel_hi:[0,0]
	v_pk_lshrrev_b16 v19, 8, v19 op_sel:[1,1] op_sel_hi:[0,1]
	v_lshrrev_b32_e32 v23, 16, v22
	v_cvt_f16_i16_sdwa v22, sext(v22) dst_sel:DWORD dst_unused:UNUSED_PAD src0_sel:BYTE_0
	v_cvt_f16_i16_sdwa v23, sext(v23) dst_sel:DWORD dst_unused:UNUSED_PAD src0_sel:BYTE_0
	v_pack_b32_f16 v22, v22, v23
	v_lshrrev_b32_e32 v23, 16, v19
	v_cvt_f16_i16_sdwa v19, sext(v19) dst_sel:DWORD dst_unused:UNUSED_PAD src0_sel:BYTE_0
	v_pk_mul_f16 v22, v22, v18
	v_cvt_f16_i16_sdwa v23, sext(v23) dst_sel:DWORD dst_unused:UNUSED_PAD src0_sel:BYTE_0
	v_pack_b32_f16 v19, v19, v23
	v_pk_mul_f16 v19, v19, v18
	v_pk_fma_f16 v18, v22, v25, v24
	v_pk_fma_f16 v19, v19, v25, v20
	v_add_co_u32 v25, vcc_lo, s3, v138
	v_add_co_ci_u32_e64 v26, null, s19, v143, vcc_lo
	v_mul_u32_u24_sdwa v20, v21, v80 dst_sel:DWORD dst_unused:UNUSED_PAD src0_sel:WORD_1 src1_sel:DWORD
	v_add_co_u32 v21, vcc_lo, v25, v147
	v_add_co_ci_u32_e64 v22, null, v26, v145, vcc_lo
	s_add_u32 s3, s3, s18
	v_add_co_u32 v23, vcc_lo, v21, v78
	v_add_co_ci_u32_e64 v24, null, 0, v22, vcc_lo
	global_load_ushort v21, v[21:22], off
	s_addc_u32 s19, s19, 0
	s_add_u32 s10, s10, s12
	global_load_dword v22, v[23:24], off offset:2
	s_addc_u32 s11, s11, s13
	s_cmp_ge_i32 s2, s34
	s_waitcnt vmcnt(1)
	v_mul_u32_u24_e32 v21, 0x10001, v21
	s_waitcnt vmcnt(0)
	v_pk_lshrrev_b16 v23, 8, v22 op_sel:[1,0] op_sel_hi:[0,0]
	v_pk_lshrrev_b16 v22, 8, v22 op_sel:[1,1] op_sel_hi:[0,1]
	v_lshrrev_b32_e32 v24, 16, v23
	v_cvt_f16_i16_sdwa v23, sext(v23) dst_sel:DWORD dst_unused:UNUSED_PAD src0_sel:BYTE_0
	v_cvt_f16_i16_sdwa v24, sext(v24) dst_sel:DWORD dst_unused:UNUSED_PAD src0_sel:BYTE_0
	v_pack_b32_f16 v23, v23, v24
	v_lshrrev_b32_e32 v24, 16, v22
	v_cvt_f16_i16_sdwa v22, sext(v22) dst_sel:DWORD dst_unused:UNUSED_PAD src0_sel:BYTE_0
	v_pk_mul_f16 v23, v23, v21
	v_cvt_f16_i16_sdwa v24, sext(v24) dst_sel:DWORD dst_unused:UNUSED_PAD src0_sel:BYTE_0
	v_pk_fma_f16 v23, v23, v20, v28
	v_pack_b32_f16 v22, v22, v24
	v_add_co_u32 v24, vcc_lo, v25, v148
	v_add_co_ci_u32_e64 v25, null, v26, v146, vcc_lo
	v_pk_mul_f16 v21, v22, v21
	v_add_co_u32 v26, vcc_lo, v24, v87
	v_add_co_ci_u32_e64 v27, null, 0, v25, vcc_lo
	v_pk_fma_f16 v22, v21, v20, v29
	s_clause 0x1
	global_load_ushort v21, v[24:25], off
	global_load_dword v24, v[26:27], off offset:2
	s_waitcnt vmcnt(1)
	v_mul_u32_u24_e32 v21, 0x10001, v21
	s_waitcnt vmcnt(0)
	v_pk_lshrrev_b16 v25, 8, v24 op_sel:[1,0] op_sel_hi:[0,0]
	v_pk_lshrrev_b16 v24, 8, v24 op_sel:[1,1] op_sel_hi:[0,1]
	v_lshrrev_b32_e32 v26, 16, v25
	v_cvt_f16_i16_sdwa v25, sext(v25) dst_sel:DWORD dst_unused:UNUSED_PAD src0_sel:BYTE_0
	v_cvt_f16_i16_sdwa v26, sext(v26) dst_sel:DWORD dst_unused:UNUSED_PAD src0_sel:BYTE_0
	v_pack_b32_f16 v25, v25, v26
	v_lshrrev_b32_e32 v26, 16, v24
	v_cvt_f16_i16_sdwa v24, sext(v24) dst_sel:DWORD dst_unused:UNUSED_PAD src0_sel:BYTE_0
	v_pk_mul_f16 v25, v25, v21
	v_cvt_f16_i16_sdwa v26, sext(v26) dst_sel:DWORD dst_unused:UNUSED_PAD src0_sel:BYTE_0
	v_pk_fma_f16 v25, v25, v20, v18
	v_pack_b32_f16 v24, v24, v26
	v_pk_mul_f16 v21, v24, v21
	v_pk_fma_f16 v24, v21, v20, v19
	s_cbranch_scc1 .LBB23_22
; %bb.20:                               ;   in Loop: Header=BB23_15 Depth=1
	v_mov_b32_e32 v26, v144
	s_branch .LBB23_15
.LBB23_21:
	v_mov_b32_e32 v23, 0
	v_mov_b32_e32 v144, 0xfeffffff
	;; [unrolled: 1-line block ×5, first 2 shown]
.LBB23_22:
	v_or_b32_e32 v2, s7, v1
	s_cmp_lg_u64 s[16:17], 0
	s_cselect_b32 s1, -1, 0
	v_cmp_eq_u32_e32 vcc_lo, 0, v2
	s_and_b32 s2, vcc_lo, s1
	s_and_saveexec_b32 s1, s2
	s_cbranch_execz .LBB23_24
; %bb.23:
	s_lshl_b64 s[2:3], s[30:31], 2
	v_max_f32_e32 v2, v144, v144
	s_add_u32 s2, s16, s2
	s_addc_u32 s3, s17, s3
	s_load_dword s2, s[2:3], 0x0
	s_waitcnt lgkmcnt(0)
	v_max_f32_e64 v3, s2, s2
	v_max_f32_e32 v2, v2, v3
	v_sub_f32_e32 v3, v144, v2
	v_sub_f32_e32 v4, s2, v2
	v_mov_b32_e32 v144, v2
	v_mul_f32_e32 v5, 0x3fb8aa3b, v3
	v_mul_f32_e32 v6, 0x3fb8aa3b, v4
	v_cmp_ngt_f32_e32 vcc_lo, 0xc2ce8ed0, v3
	v_fma_f32 v7, 0x3fb8aa3b, v3, -v5
	v_rndne_f32_e32 v8, v5
	v_fma_f32 v9, 0x3fb8aa3b, v4, -v6
	v_rndne_f32_e32 v10, v6
	v_fmac_f32_e32 v7, 0x32a5705f, v3
	v_sub_f32_e32 v5, v5, v8
	v_fmac_f32_e32 v9, 0x32a5705f, v4
	v_sub_f32_e32 v6, v6, v10
	v_add_f32_e32 v5, v5, v7
	v_cvt_i32_f32_e32 v7, v8
	v_add_f32_e32 v6, v6, v9
	v_cvt_i32_f32_e32 v8, v10
	v_exp_f32_e32 v5, v5
	v_exp_f32_e32 v6, v6
	v_ldexp_f32 v5, v5, v7
	v_ldexp_f32 v6, v6, v8
	v_cndmask_b32_e32 v5, 0, v5, vcc_lo
	v_cmp_ngt_f32_e32 vcc_lo, 0xc2ce8ed0, v4
	v_cndmask_b32_e32 v6, 0, v6, vcc_lo
	v_cmp_nlt_f32_e32 vcc_lo, 0x42b17218, v3
	v_cndmask_b32_e32 v3, 0x7f800000, v5, vcc_lo
	v_cmp_nlt_f32_e32 vcc_lo, 0x42b17218, v4
	v_mov_b32_e32 v5, 0x10001
	v_cndmask_b32_e32 v4, 0x7f800000, v6, vcc_lo
	v_cmp_eq_u32_e32 vcc_lo, 0, v0
	v_cvt_f16_f32_e32 v6, v3
	v_cndmask_b32_e32 v4, 0, v4, vcc_lo
	v_mul_u32_u24_sdwa v5, v6, v5 dst_sel:DWORD dst_unused:UNUSED_PAD src0_sel:WORD_0 src1_sel:DWORD
	v_fmac_f32_e32 v4, v75, v3
	v_pk_mul_f16 v23, v23, v5
	v_pk_mul_f16 v22, v22, v5
	;; [unrolled: 1-line block ×4, first 2 shown]
	v_mov_b32_e32 v75, v4
.LBB23_24:
	s_or_b32 exec_lo, exec_lo, s1
	s_and_saveexec_b32 s1, s0
	s_cbranch_execz .LBB23_26
; %bb.25:
	v_mov_b32_e32 v2, 0xfeffffff
	v_mov_b32_e32 v3, 0
	v_add_nc_u32_e32 v4, 0x800, v70
	ds_write2_b32 v4, v2, v3 offset1:32
.LBB23_26:
	s_or_b32 exec_lo, exec_lo, s1
	v_cmp_eq_u32_e32 vcc_lo, 0, v0
	v_lshlrev_b32_e32 v4, 2, v1
	s_waitcnt lgkmcnt(0)
	s_barrier
	buffer_gl0_inv
	s_and_saveexec_b32 s0, vcc_lo
; %bb.27:
	ds_write_b32 v4, v144 offset:2048
; %bb.28:
	s_or_b32 exec_lo, exec_lo, s0
	s_waitcnt lgkmcnt(0)
	s_barrier
	buffer_gl0_inv
	ds_read_b32 v2, v70 offset:2048
	v_xor_b32_e32 v3, 16, v66
	v_xor_b32_e32 v6, 8, v66
	;; [unrolled: 1-line block ×5, first 2 shown]
	v_cmp_gt_i32_e64 s0, 32, v3
	s_load_dword s1, s[4:5], 0xd4
	v_lshlrev_b32_e32 v0, 3, v0
	v_cndmask_b32_e64 v3, v66, v3, s0
	v_cmp_gt_i32_e64 s0, 32, v6
	v_lshl_add_u32 v0, v1, 9, v0
	v_lshlrev_b32_e32 v5, 2, v3
	v_cndmask_b32_e64 v6, v66, v6, s0
	v_cmp_gt_i32_e64 s0, 32, v7
	s_waitcnt lgkmcnt(0)
	ds_bpermute_b32 v3, v5, v2
	v_max_f32_e32 v2, v2, v2
	v_lshlrev_b32_e32 v6, 2, v6
	v_cndmask_b32_e64 v7, v66, v7, s0
	v_cmp_gt_i32_e64 s0, 32, v8
	v_lshlrev_b32_e32 v7, 2, v7
	v_cndmask_b32_e64 v8, v66, v8, s0
	v_cmp_gt_i32_e64 s0, 32, v9
	v_lshlrev_b32_e32 v8, 2, v8
	v_cndmask_b32_e64 v9, v66, v9, s0
	s_waitcnt lgkmcnt(0)
	v_max_f32_e32 v3, v3, v3
	v_max_f32_e32 v2, v2, v3
	ds_bpermute_b32 v3, v6, v2
	s_waitcnt lgkmcnt(0)
	v_max_f32_e32 v3, v3, v3
	v_max_f32_e32 v2, v2, v3
	ds_bpermute_b32 v3, v7, v2
	;; [unrolled: 4-line block ×3, first 2 shown]
	s_waitcnt lgkmcnt(0)
	v_max_f32_e32 v10, v3, v3
	v_lshlrev_b32_e32 v3, 2, v9
	v_max_f32_e32 v2, v2, v10
	ds_bpermute_b32 v9, v3, v2
	s_waitcnt lgkmcnt(0)
	v_max_f32_e32 v9, v9, v9
	v_max_f32_e32 v2, v2, v9
	v_sub_f32_e32 v9, v144, v2
	v_mul_f32_e32 v10, 0x3fb8aa3b, v9
	v_cmp_ngt_f32_e64 s0, 0xc2ce8ed0, v9
	v_fma_f32 v11, 0x3fb8aa3b, v9, -v10
	v_rndne_f32_e32 v12, v10
	v_fmamk_f32 v11, v9, 0x32a5705f, v11
	v_sub_f32_e32 v10, v10, v12
	v_add_f32_e32 v10, v10, v11
	v_cvt_i32_f32_e32 v11, v12
	v_mov_b32_e32 v12, 0x10001
	v_exp_f32_e32 v10, v10
	v_ldexp_f32 v10, v10, v11
	v_cndmask_b32_e64 v10, 0, v10, s0
	v_cmp_nlt_f32_e64 s0, 0x42b17218, v9
	v_cndmask_b32_e64 v10, 0x7f800000, v10, s0
	v_mul_f32_e32 v9, v75, v10
	ds_bpermute_b32 v9, v5, v9
	s_waitcnt lgkmcnt(0)
	v_fmac_f32_e32 v9, v75, v10
	ds_bpermute_b32 v11, v6, v9
	s_waitcnt lgkmcnt(0)
	v_add_f32_e32 v9, v9, v11
	ds_bpermute_b32 v11, v7, v9
	s_waitcnt lgkmcnt(0)
	v_add_f32_e32 v9, v9, v11
	;; [unrolled: 3-line block ×3, first 2 shown]
	v_cvt_f16_f32_e32 v11, v10
	ds_bpermute_b32 v10, v3, v9
	v_mul_u32_u24_sdwa v14, v11, v12 dst_sel:DWORD dst_unused:UNUSED_PAD src0_sel:WORD_0 src1_sel:DWORD
	v_pk_mul_f16 v11, v23, v14
	v_pk_mul_f16 v12, v22, v14
	;; [unrolled: 1-line block ×4, first 2 shown]
	ds_write2_b64 v0, v[11:12], v[13:14] offset1:32
	s_and_saveexec_b32 s0, vcc_lo
	s_cbranch_execz .LBB23_30
; %bb.29:
	s_waitcnt lgkmcnt(1)
	v_add_f32_e32 v0, v9, v10
	ds_write_b32 v4, v0 offset:2176
.LBB23_30:
	s_or_b32 exec_lo, exec_lo, s0
	s_waitcnt lgkmcnt(0)
	s_barrier
	buffer_gl0_inv
	ds_read_b32 v0, v70 offset:2176
	s_mul_i32 s2, s33, s28
	s_mov_b32 s3, 0
	s_add_i32 s2, s2, s6
	s_mul_i32 s2, s2, s29
	s_add_i32 s2, s2, s30
	s_mul_i32 s2, s1, s2
	s_add_i32 s2, s2, s7
	s_cmp_eq_u32 s1, 1
	s_waitcnt lgkmcnt(0)
	ds_bpermute_b32 v1, v5, v0
	s_waitcnt lgkmcnt(0)
	v_add_f32_e32 v0, v0, v1
	ds_bpermute_b32 v1, v6, v0
	s_waitcnt lgkmcnt(0)
	v_add_f32_e32 v0, v0, v1
	;; [unrolled: 3-line block ×3, first 2 shown]
	ds_bpermute_b32 v1, v8, v0
	ds_read_u16 v4, v69
	ds_read_u16 v5, v69 offset:1792
	ds_read_u16 v6, v69 offset:1280
	;; [unrolled: 1-line block ×7, first 2 shown]
	s_waitcnt lgkmcnt(6)
	v_cvt_f32_f16_e32 v5, v5
	s_waitcnt lgkmcnt(5)
	v_cvt_f32_f16_e32 v6, v6
	s_waitcnt lgkmcnt(4)
	v_cvt_f32_f16_e32 v7, v7
	v_add_f32_e32 v0, v0, v1
	v_cvt_f32_f16_e32 v1, v4
	s_waitcnt lgkmcnt(3)
	v_cvt_f32_f16_e32 v4, v8
	s_waitcnt lgkmcnt(2)
	;; [unrolled: 2-line block ×3, first 2 shown]
	v_cvt_f32_f16_e32 v9, v10
	ds_bpermute_b32 v3, v3, v0
	v_add_f32_e32 v1, 0, v1
	v_add_f32_e32 v4, 0, v4
	;; [unrolled: 1-line block ×4, first 2 shown]
	s_waitcnt lgkmcnt(1)
	v_cvt_f32_f16_e32 v7, v11
	v_add_f32_e32 v1, v1, v9
	v_add_f32_e32 v4, v4, v6
	v_add_f32_e32 v6, v1, v7
	v_add_f32_e32 v7, v4, v5
	s_waitcnt lgkmcnt(0)
	v_add_f32_e32 v3, v0, v3
	v_div_scale_f32 v0, null, v3, v3, v6
	v_div_scale_f32 v4, null, v3, v3, v7
	v_div_scale_f32 v10, vcc_lo, v6, v3, v6
	v_rcp_f32_e32 v5, v0
	v_rcp_f32_e32 v8, v4
	v_div_scale_f32 v11, s0, v7, v3, v7
	v_fma_f32 v1, -v0, v5, 1.0
	v_fma_f32 v9, -v4, v8, 1.0
	v_fmac_f32_e32 v5, v1, v5
	v_fmac_f32_e32 v8, v9, v8
	v_mul_f32_e32 v9, v10, v5
	v_mul_f32_e32 v12, v11, v8
	v_fma_f32 v1, -v0, v9, v10
	v_fma_f32 v13, -v4, v12, v11
	v_fmac_f32_e32 v9, v1, v5
	v_fmac_f32_e32 v12, v13, v8
	v_mov_b32_e32 v1, 0
	v_fma_f32 v10, -v0, v9, v10
	v_lshl_or_b32 v0, s2, 8, v68
	v_fma_f32 v4, -v4, v12, v11
	v_div_fmas_f32 v9, v10, v5, v9
	s_mov_b32 vcc_lo, s0
	v_div_fmas_f32 v8, v4, v8, v12
	v_lshlrev_b64 v[4:5], 2, v[0:1]
	v_div_fixup_f32 v0, v9, v3, v6
	v_cmp_eq_u32_e32 vcc_lo, 0, v68
	v_div_fixup_f32 v8, v8, v3, v7
	v_add_co_u32 v4, s0, s20, v4
	v_add_co_ci_u32_e64 v5, null, s21, v5, s0
	s_cselect_b32 s0, -1, 0
	s_cmp_lg_u32 s1, 1
	v_cndmask_b32_e64 v0, v6, v0, s0
	v_cndmask_b32_e64 v6, v7, v8, s0
	s_cselect_b32 s0, -1, 0
	s_and_b32 s0, vcc_lo, s0
	global_store_dword v[4:5], v0, off
	global_store_dword v[4:5], v6, off offset:512
	s_and_saveexec_b32 s1, s0
	s_cbranch_execz .LBB23_32
; %bb.31:
	s_lshl_b64 s[0:1], s[2:3], 3
	s_add_u32 s0, s22, s0
	s_addc_u32 s1, s23, s1
	global_store_dwordx2 v1, v[2:3], s[0:1]
.LBB23_32:
	s_endpgm
	.section	.rodata,"a",@progbits
	.p2align	6, 0x0
	.amdhsa_kernel _ZL18flash_attn_ext_vecILi256ELi1EL9ggml_type2ELS0_8ELb0EEvPKcS2_S2_S2_S2_PKiPfP15HIP_vector_typeIfLj2EEffffjfiS6_IjLj3EEiiiiiiiiiiiliiliiiiil
		.amdhsa_group_segment_fixed_size 2304
		.amdhsa_private_segment_fixed_size 0
		.amdhsa_kernarg_size 464
		.amdhsa_user_sgpr_count 6
		.amdhsa_user_sgpr_private_segment_buffer 1
		.amdhsa_user_sgpr_dispatch_ptr 0
		.amdhsa_user_sgpr_queue_ptr 0
		.amdhsa_user_sgpr_kernarg_segment_ptr 1
		.amdhsa_user_sgpr_dispatch_id 0
		.amdhsa_user_sgpr_flat_scratch_init 0
		.amdhsa_user_sgpr_private_segment_size 0
		.amdhsa_wavefront_size32 1
		.amdhsa_uses_dynamic_stack 0
		.amdhsa_system_sgpr_private_segment_wavefront_offset 0
		.amdhsa_system_sgpr_workgroup_id_x 1
		.amdhsa_system_sgpr_workgroup_id_y 1
		.amdhsa_system_sgpr_workgroup_id_z 1
		.amdhsa_system_sgpr_workgroup_info 0
		.amdhsa_system_vgpr_workitem_id 1
		.amdhsa_next_free_vgpr 160
		.amdhsa_next_free_sgpr 52
		.amdhsa_reserve_vcc 1
		.amdhsa_reserve_flat_scratch 0
		.amdhsa_float_round_mode_32 0
		.amdhsa_float_round_mode_16_64 0
		.amdhsa_float_denorm_mode_32 3
		.amdhsa_float_denorm_mode_16_64 3
		.amdhsa_dx10_clamp 1
		.amdhsa_ieee_mode 1
		.amdhsa_fp16_overflow 0
		.amdhsa_workgroup_processor_mode 1
		.amdhsa_memory_ordered 1
		.amdhsa_forward_progress 1
		.amdhsa_shared_vgpr_count 0
		.amdhsa_exception_fp_ieee_invalid_op 0
		.amdhsa_exception_fp_denorm_src 0
		.amdhsa_exception_fp_ieee_div_zero 0
		.amdhsa_exception_fp_ieee_overflow 0
		.amdhsa_exception_fp_ieee_underflow 0
		.amdhsa_exception_fp_ieee_inexact 0
		.amdhsa_exception_int_div_zero 0
	.end_amdhsa_kernel
	.section	.text._ZL18flash_attn_ext_vecILi256ELi1EL9ggml_type2ELS0_8ELb0EEvPKcS2_S2_S2_S2_PKiPfP15HIP_vector_typeIfLj2EEffffjfiS6_IjLj3EEiiiiiiiiiiiliiliiiiil,"axG",@progbits,_ZL18flash_attn_ext_vecILi256ELi1EL9ggml_type2ELS0_8ELb0EEvPKcS2_S2_S2_S2_PKiPfP15HIP_vector_typeIfLj2EEffffjfiS6_IjLj3EEiiiiiiiiiiiliiliiiiil,comdat
.Lfunc_end23:
	.size	_ZL18flash_attn_ext_vecILi256ELi1EL9ggml_type2ELS0_8ELb0EEvPKcS2_S2_S2_S2_PKiPfP15HIP_vector_typeIfLj2EEffffjfiS6_IjLj3EEiiiiiiiiiiiliiliiiiil, .Lfunc_end23-_ZL18flash_attn_ext_vecILi256ELi1EL9ggml_type2ELS0_8ELb0EEvPKcS2_S2_S2_S2_PKiPfP15HIP_vector_typeIfLj2EEffffjfiS6_IjLj3EEiiiiiiiiiiiliiliiiiil
                                        ; -- End function
	.set _ZL18flash_attn_ext_vecILi256ELi1EL9ggml_type2ELS0_8ELb0EEvPKcS2_S2_S2_S2_PKiPfP15HIP_vector_typeIfLj2EEffffjfiS6_IjLj3EEiiiiiiiiiiiliiliiiiil.num_vgpr, 160
	.set _ZL18flash_attn_ext_vecILi256ELi1EL9ggml_type2ELS0_8ELb0EEvPKcS2_S2_S2_S2_PKiPfP15HIP_vector_typeIfLj2EEffffjfiS6_IjLj3EEiiiiiiiiiiiliiliiiiil.num_agpr, 0
	.set _ZL18flash_attn_ext_vecILi256ELi1EL9ggml_type2ELS0_8ELb0EEvPKcS2_S2_S2_S2_PKiPfP15HIP_vector_typeIfLj2EEffffjfiS6_IjLj3EEiiiiiiiiiiiliiliiiiil.numbered_sgpr, 52
	.set _ZL18flash_attn_ext_vecILi256ELi1EL9ggml_type2ELS0_8ELb0EEvPKcS2_S2_S2_S2_PKiPfP15HIP_vector_typeIfLj2EEffffjfiS6_IjLj3EEiiiiiiiiiiiliiliiiiil.num_named_barrier, 0
	.set _ZL18flash_attn_ext_vecILi256ELi1EL9ggml_type2ELS0_8ELb0EEvPKcS2_S2_S2_S2_PKiPfP15HIP_vector_typeIfLj2EEffffjfiS6_IjLj3EEiiiiiiiiiiiliiliiiiil.private_seg_size, 0
	.set _ZL18flash_attn_ext_vecILi256ELi1EL9ggml_type2ELS0_8ELb0EEvPKcS2_S2_S2_S2_PKiPfP15HIP_vector_typeIfLj2EEffffjfiS6_IjLj3EEiiiiiiiiiiiliiliiiiil.uses_vcc, 1
	.set _ZL18flash_attn_ext_vecILi256ELi1EL9ggml_type2ELS0_8ELb0EEvPKcS2_S2_S2_S2_PKiPfP15HIP_vector_typeIfLj2EEffffjfiS6_IjLj3EEiiiiiiiiiiiliiliiiiil.uses_flat_scratch, 0
	.set _ZL18flash_attn_ext_vecILi256ELi1EL9ggml_type2ELS0_8ELb0EEvPKcS2_S2_S2_S2_PKiPfP15HIP_vector_typeIfLj2EEffffjfiS6_IjLj3EEiiiiiiiiiiiliiliiiiil.has_dyn_sized_stack, 0
	.set _ZL18flash_attn_ext_vecILi256ELi1EL9ggml_type2ELS0_8ELb0EEvPKcS2_S2_S2_S2_PKiPfP15HIP_vector_typeIfLj2EEffffjfiS6_IjLj3EEiiiiiiiiiiiliiliiiiil.has_recursion, 0
	.set _ZL18flash_attn_ext_vecILi256ELi1EL9ggml_type2ELS0_8ELb0EEvPKcS2_S2_S2_S2_PKiPfP15HIP_vector_typeIfLj2EEffffjfiS6_IjLj3EEiiiiiiiiiiiliiliiiiil.has_indirect_call, 0
	.section	.AMDGPU.csdata,"",@progbits
; Kernel info:
; codeLenInByte = 21072
; TotalNumSgprs: 54
; NumVgprs: 160
; ScratchSize: 0
; MemoryBound: 0
; FloatMode: 240
; IeeeMode: 1
; LDSByteSize: 2304 bytes/workgroup (compile time only)
; SGPRBlocks: 0
; VGPRBlocks: 19
; NumSGPRsForWavesPerEU: 54
; NumVGPRsForWavesPerEU: 160
; Occupancy: 6
; WaveLimiterHint : 0
; COMPUTE_PGM_RSRC2:SCRATCH_EN: 0
; COMPUTE_PGM_RSRC2:USER_SGPR: 6
; COMPUTE_PGM_RSRC2:TRAP_HANDLER: 0
; COMPUTE_PGM_RSRC2:TGID_X_EN: 1
; COMPUTE_PGM_RSRC2:TGID_Y_EN: 1
; COMPUTE_PGM_RSRC2:TGID_Z_EN: 1
; COMPUTE_PGM_RSRC2:TIDIG_COMP_CNT: 1
	.section	.text._ZL33flash_attn_stream_k_fixup_uniformILi256ELi1ELi1EEvPfPK15HIP_vector_typeIfLj2EEiiiiiiS1_IjLj3EES5_S5_,"axG",@progbits,_ZL33flash_attn_stream_k_fixup_uniformILi256ELi1ELi1EEvPfPK15HIP_vector_typeIfLj2EEiiiiiiS1_IjLj3EES5_S5_,comdat
	.globl	_ZL33flash_attn_stream_k_fixup_uniformILi256ELi1ELi1EEvPfPK15HIP_vector_typeIfLj2EEiiiiiiS1_IjLj3EES5_S5_ ; -- Begin function _ZL33flash_attn_stream_k_fixup_uniformILi256ELi1ELi1EEvPfPK15HIP_vector_typeIfLj2EEiiiiiiS1_IjLj3EES5_S5_
	.p2align	8
	.type	_ZL33flash_attn_stream_k_fixup_uniformILi256ELi1ELi1EEvPfPK15HIP_vector_typeIfLj2EEiiiiiiS1_IjLj3EES5_S5_,@function
_ZL33flash_attn_stream_k_fixup_uniformILi256ELi1ELi1EEvPfPK15HIP_vector_typeIfLj2EEiiiiiiS1_IjLj3EES5_S5_: ; @_ZL33flash_attn_stream_k_fixup_uniformILi256ELi1ELi1EEvPfPK15HIP_vector_typeIfLj2EEiiiiiiS1_IjLj3EES5_S5_
; %bb.0:
	s_clause 0x1
	s_load_dwordx8 s[12:19], s[4:5], 0x1c
	s_load_dwordx4 s[0:3], s[4:5], 0x3c
	s_waitcnt lgkmcnt(0)
	s_mul_hi_u32 s9, s15, s6
	s_add_i32 s9, s6, s9
	s_lshr_b32 s9, s9, s16
	s_mul_i32 s10, s9, s17
	s_sub_i32 s16, s6, s10
	s_load_dwordx2 s[10:11], s[4:5], 0x10
	s_mul_hi_u32 s15, s16, s18
	s_add_i32 s15, s16, s15
	s_lshr_b32 s15, s15, s19
	s_mul_i32 s0, s15, s0
	s_sub_i32 s0, s16, s0
	s_mul_hi_u32 s1, s0, s1
	s_add_i32 s1, s0, s1
	s_lshr_b32 s17, s1, s2
	s_mul_i32 s1, s17, s3
	s_sub_i32 s16, s0, s1
	s_add_i32 s16, s16, s7
	s_waitcnt lgkmcnt(0)
	s_cmp_lt_i32 s16, s10
	s_cselect_b32 s0, -1, 0
	s_add_i32 s17, s17, s8
	s_cmp_lt_i32 s17, s13
	s_cselect_b32 s1, -1, 0
	s_and_b32 s0, s0, s1
	s_andn2_b32 vcc_lo, exec_lo, s0
	s_cbranch_vccnz .LBB24_6
; %bb.1:
	s_mul_i32 s9, s9, s10
	s_load_dwordx4 s[0:3], s[4:5], 0x0
	s_mul_i32 s15, s15, s13
	s_add_i32 s4, s16, s9
	s_add_i32 s5, s17, s15
	s_mul_i32 s4, s4, s11
	s_add_i32 s5, s5, s4
	s_mul_i32 s4, s14, s6
	v_lshl_or_b32 v1, s5, 8, v0
	s_add_i32 s6, s7, s8
	s_add_i32 s5, s4, s14
	;; [unrolled: 1-line block ×3, first 2 shown]
	v_ashrrev_i32_e32 v2, 31, v1
	v_lshlrev_b64 v[1:2], 2, v[1:2]
	s_waitcnt lgkmcnt(0)
	v_add_co_u32 v1, vcc_lo, s0, v1
	v_add_co_ci_u32_e64 v2, null, s1, v2, vcc_lo
	s_add_i32 s0, s7, -1
	s_ashr_i32 s1, s0, 31
	global_load_dword v5, v[1:2], off
	s_lshl_b64 s[0:1], s[0:1], 3
	s_add_u32 s0, s2, s0
	s_addc_u32 s1, s3, s1
	s_add_i32 s9, s5, -2
	s_load_dword s8, s[0:1], 0x4
	s_cmp_lt_i32 s9, s4
	s_cbranch_scc1 .LBB24_4
; %bb.2:
	s_load_dword s9, s[0:1], 0x0
	v_lshl_or_b32 v0, s7, 8, v0
	s_lshl_b32 s0, s12, 2
	s_waitcnt lgkmcnt(0)
	v_mov_b32_e32 v6, s8
	s_ashr_i32 s1, s0, 31
	s_lshl_b64 s[0:1], s[0:1], 2
	v_add_nc_u32_e32 v3, 0xfffffe00, v0
	s_add_u32 s0, s2, s0
	s_addc_u32 s1, s3, s1
	s_add_i32 s5, s5, -1
	s_add_i32 s6, s6, s12
	v_mov_b32_e32 v0, s9
.LBB24_3:                               ; =>This Inner Loop Header: Depth=1
	v_ashrrev_i32_e32 v4, 31, v3
	s_add_i32 s5, s5, -1
	s_add_i32 s8, s5, s6
	s_ashr_i32 s9, s8, 31
	v_lshlrev_b64 v[7:8], 2, v[3:4]
	s_lshl_b64 s[8:9], s[8:9], 3
	v_add_nc_u32_e32 v3, 0xffffff00, v3
	s_add_u32 s8, s2, s8
	s_addc_u32 s9, s3, s9
	s_cmp_le_i32 s5, s4
	v_add_co_u32 v7, vcc_lo, s0, v7
	v_add_co_ci_u32_e64 v8, null, s1, v8, vcc_lo
	s_load_dwordx2 s[8:9], s[8:9], 0x0
	global_load_dword v4, v[7:8], off
	v_max_f32_e32 v7, v0, v0
	s_waitcnt lgkmcnt(0)
	v_max_f32_e64 v8, s8, s8
	v_max_f32_e32 v7, v7, v8
	v_sub_f32_e32 v8, s8, v7
	v_sub_f32_e32 v0, v0, v7
	v_mul_f32_e32 v9, 0x3fb8aa3b, v8
	v_mul_f32_e32 v12, 0x3fb8aa3b, v0
	v_cmp_ngt_f32_e32 vcc_lo, 0xc2ce8ed0, v8
	v_fma_f32 v10, 0x3fb8aa3b, v8, -v9
	v_rndne_f32_e32 v11, v9
	v_fma_f32 v13, 0x3fb8aa3b, v0, -v12
	v_rndne_f32_e32 v14, v12
	v_fmac_f32_e32 v10, 0x32a5705f, v8
	v_sub_f32_e32 v9, v9, v11
	v_fmac_f32_e32 v13, 0x32a5705f, v0
	v_cvt_i32_f32_e32 v11, v11
	v_add_f32_e32 v9, v9, v10
	v_sub_f32_e32 v10, v12, v14
	v_exp_f32_e32 v9, v9
	v_add_f32_e32 v10, v10, v13
	v_exp_f32_e32 v10, v10
	v_ldexp_f32 v9, v9, v11
	v_cvt_i32_f32_e32 v11, v14
	v_cndmask_b32_e32 v9, 0, v9, vcc_lo
	v_cmp_nlt_f32_e32 vcc_lo, 0x42b17218, v8
	v_ldexp_f32 v10, v10, v11
	v_mov_b32_e32 v11, v6
	v_cndmask_b32_e32 v9, 0x7f800000, v9, vcc_lo
	v_cmp_ngt_f32_e32 vcc_lo, 0xc2ce8ed0, v0
	v_cndmask_b32_e32 v10, 0, v10, vcc_lo
	v_cmp_le_f32_e32 vcc_lo, 0xc1a00000, v8
	v_cndmask_b32_e32 v8, 0, v9, vcc_lo
	v_cmp_nlt_f32_e32 vcc_lo, 0x42b17218, v0
	s_waitcnt vmcnt(1)
	v_mov_b32_e32 v9, v5
	v_cndmask_b32_e32 v5, 0x7f800000, v10, vcc_lo
	v_mul_f32_e32 v10, s9, v8
	v_cmp_le_f32_e32 vcc_lo, 0xc1a00000, v0
	v_mov_b32_e32 v0, v7
	v_mov_b32_e32 v6, v10
	v_cndmask_b32_e32 v12, 0, v5, vcc_lo
	v_fmac_f32_e32 v6, v11, v12
	s_waitcnt vmcnt(0)
	v_mul_f32_e32 v5, v4, v8
	v_fmac_f32_e32 v5, v9, v12
	s_cbranch_scc0 .LBB24_3
	s_branch .LBB24_5
.LBB24_4:
	s_waitcnt lgkmcnt(0)
	v_mov_b32_e32 v6, s8
.LBB24_5:
	s_waitcnt vmcnt(0)
	v_div_scale_f32 v0, null, v6, v6, v5
	v_rcp_f32_e32 v3, v0
	v_fma_f32 v4, -v0, v3, 1.0
	v_fmac_f32_e32 v3, v4, v3
	v_div_scale_f32 v4, vcc_lo, v5, v6, v5
	v_mul_f32_e32 v7, v4, v3
	v_fma_f32 v8, -v0, v7, v4
	v_fmac_f32_e32 v7, v8, v3
	v_fma_f32 v0, -v0, v7, v4
	v_div_fmas_f32 v0, v0, v3, v7
	v_div_fixup_f32 v0, v0, v6, v5
	global_store_dword v[1:2], v0, off
.LBB24_6:
	s_endpgm
	.section	.rodata,"a",@progbits
	.p2align	6, 0x0
	.amdhsa_kernel _ZL33flash_attn_stream_k_fixup_uniformILi256ELi1ELi1EEvPfPK15HIP_vector_typeIfLj2EEiiiiiiS1_IjLj3EES5_S5_
		.amdhsa_group_segment_fixed_size 0
		.amdhsa_private_segment_fixed_size 0
		.amdhsa_kernarg_size 76
		.amdhsa_user_sgpr_count 6
		.amdhsa_user_sgpr_private_segment_buffer 1
		.amdhsa_user_sgpr_dispatch_ptr 0
		.amdhsa_user_sgpr_queue_ptr 0
		.amdhsa_user_sgpr_kernarg_segment_ptr 1
		.amdhsa_user_sgpr_dispatch_id 0
		.amdhsa_user_sgpr_flat_scratch_init 0
		.amdhsa_user_sgpr_private_segment_size 0
		.amdhsa_wavefront_size32 1
		.amdhsa_uses_dynamic_stack 0
		.amdhsa_system_sgpr_private_segment_wavefront_offset 0
		.amdhsa_system_sgpr_workgroup_id_x 1
		.amdhsa_system_sgpr_workgroup_id_y 1
		.amdhsa_system_sgpr_workgroup_id_z 1
		.amdhsa_system_sgpr_workgroup_info 0
		.amdhsa_system_vgpr_workitem_id 0
		.amdhsa_next_free_vgpr 15
		.amdhsa_next_free_sgpr 20
		.amdhsa_reserve_vcc 1
		.amdhsa_reserve_flat_scratch 0
		.amdhsa_float_round_mode_32 0
		.amdhsa_float_round_mode_16_64 0
		.amdhsa_float_denorm_mode_32 3
		.amdhsa_float_denorm_mode_16_64 3
		.amdhsa_dx10_clamp 1
		.amdhsa_ieee_mode 1
		.amdhsa_fp16_overflow 0
		.amdhsa_workgroup_processor_mode 1
		.amdhsa_memory_ordered 1
		.amdhsa_forward_progress 1
		.amdhsa_shared_vgpr_count 0
		.amdhsa_exception_fp_ieee_invalid_op 0
		.amdhsa_exception_fp_denorm_src 0
		.amdhsa_exception_fp_ieee_div_zero 0
		.amdhsa_exception_fp_ieee_overflow 0
		.amdhsa_exception_fp_ieee_underflow 0
		.amdhsa_exception_fp_ieee_inexact 0
		.amdhsa_exception_int_div_zero 0
	.end_amdhsa_kernel
	.section	.text._ZL33flash_attn_stream_k_fixup_uniformILi256ELi1ELi1EEvPfPK15HIP_vector_typeIfLj2EEiiiiiiS1_IjLj3EES5_S5_,"axG",@progbits,_ZL33flash_attn_stream_k_fixup_uniformILi256ELi1ELi1EEvPfPK15HIP_vector_typeIfLj2EEiiiiiiS1_IjLj3EES5_S5_,comdat
.Lfunc_end24:
	.size	_ZL33flash_attn_stream_k_fixup_uniformILi256ELi1ELi1EEvPfPK15HIP_vector_typeIfLj2EEiiiiiiS1_IjLj3EES5_S5_, .Lfunc_end24-_ZL33flash_attn_stream_k_fixup_uniformILi256ELi1ELi1EEvPfPK15HIP_vector_typeIfLj2EEiiiiiiS1_IjLj3EES5_S5_
                                        ; -- End function
	.set _ZL33flash_attn_stream_k_fixup_uniformILi256ELi1ELi1EEvPfPK15HIP_vector_typeIfLj2EEiiiiiiS1_IjLj3EES5_S5_.num_vgpr, 15
	.set _ZL33flash_attn_stream_k_fixup_uniformILi256ELi1ELi1EEvPfPK15HIP_vector_typeIfLj2EEiiiiiiS1_IjLj3EES5_S5_.num_agpr, 0
	.set _ZL33flash_attn_stream_k_fixup_uniformILi256ELi1ELi1EEvPfPK15HIP_vector_typeIfLj2EEiiiiiiS1_IjLj3EES5_S5_.numbered_sgpr, 20
	.set _ZL33flash_attn_stream_k_fixup_uniformILi256ELi1ELi1EEvPfPK15HIP_vector_typeIfLj2EEiiiiiiS1_IjLj3EES5_S5_.num_named_barrier, 0
	.set _ZL33flash_attn_stream_k_fixup_uniformILi256ELi1ELi1EEvPfPK15HIP_vector_typeIfLj2EEiiiiiiS1_IjLj3EES5_S5_.private_seg_size, 0
	.set _ZL33flash_attn_stream_k_fixup_uniformILi256ELi1ELi1EEvPfPK15HIP_vector_typeIfLj2EEiiiiiiS1_IjLj3EES5_S5_.uses_vcc, 1
	.set _ZL33flash_attn_stream_k_fixup_uniformILi256ELi1ELi1EEvPfPK15HIP_vector_typeIfLj2EEiiiiiiS1_IjLj3EES5_S5_.uses_flat_scratch, 0
	.set _ZL33flash_attn_stream_k_fixup_uniformILi256ELi1ELi1EEvPfPK15HIP_vector_typeIfLj2EEiiiiiiS1_IjLj3EES5_S5_.has_dyn_sized_stack, 0
	.set _ZL33flash_attn_stream_k_fixup_uniformILi256ELi1ELi1EEvPfPK15HIP_vector_typeIfLj2EEiiiiiiS1_IjLj3EES5_S5_.has_recursion, 0
	.set _ZL33flash_attn_stream_k_fixup_uniformILi256ELi1ELi1EEvPfPK15HIP_vector_typeIfLj2EEiiiiiiS1_IjLj3EES5_S5_.has_indirect_call, 0
	.section	.AMDGPU.csdata,"",@progbits
; Kernel info:
; codeLenInByte = 776
; TotalNumSgprs: 22
; NumVgprs: 15
; ScratchSize: 0
; MemoryBound: 0
; FloatMode: 240
; IeeeMode: 1
; LDSByteSize: 0 bytes/workgroup (compile time only)
; SGPRBlocks: 0
; VGPRBlocks: 1
; NumSGPRsForWavesPerEU: 22
; NumVGPRsForWavesPerEU: 15
; Occupancy: 16
; WaveLimiterHint : 0
; COMPUTE_PGM_RSRC2:SCRATCH_EN: 0
; COMPUTE_PGM_RSRC2:USER_SGPR: 6
; COMPUTE_PGM_RSRC2:TRAP_HANDLER: 0
; COMPUTE_PGM_RSRC2:TGID_X_EN: 1
; COMPUTE_PGM_RSRC2:TGID_Y_EN: 1
; COMPUTE_PGM_RSRC2:TGID_Z_EN: 1
; COMPUTE_PGM_RSRC2:TIDIG_COMP_CNT: 0
	.section	.text._ZL33flash_attn_stream_k_fixup_generalILi256ELi1ELi1EEvPfPK15HIP_vector_typeIfLj2EEiiiiS1_IjLj3EES5_S5_S5_,"axG",@progbits,_ZL33flash_attn_stream_k_fixup_generalILi256ELi1ELi1EEvPfPK15HIP_vector_typeIfLj2EEiiiiS1_IjLj3EES5_S5_S5_,comdat
	.globl	_ZL33flash_attn_stream_k_fixup_generalILi256ELi1ELi1EEvPfPK15HIP_vector_typeIfLj2EEiiiiS1_IjLj3EES5_S5_S5_ ; -- Begin function _ZL33flash_attn_stream_k_fixup_generalILi256ELi1ELi1EEvPfPK15HIP_vector_typeIfLj2EEiiiiS1_IjLj3EES5_S5_S5_
	.p2align	8
	.type	_ZL33flash_attn_stream_k_fixup_generalILi256ELi1ELi1EEvPfPK15HIP_vector_typeIfLj2EEiiiiS1_IjLj3EES5_S5_S5_,@function
_ZL33flash_attn_stream_k_fixup_generalILi256ELi1ELi1EEvPfPK15HIP_vector_typeIfLj2EEiiiiS1_IjLj3EES5_S5_S5_: ; @_ZL33flash_attn_stream_k_fixup_generalILi256ELi1ELi1EEvPfPK15HIP_vector_typeIfLj2EEiiiiS1_IjLj3EES5_S5_S5_
; %bb.0:
	s_clause 0x1
	s_load_dwordx4 s[0:3], s[4:5], 0x10
	s_load_dword s9, s[4:5], 0x50
	s_mov_b32 s16, 0
	s_waitcnt lgkmcnt(0)
	s_mul_hi_i32 s17, s3, s6
	s_mul_i32 s18, s3, s6
	s_cmp_lg_u64 s[16:17], 0
	s_cbranch_scc0 .LBB25_21
; %bb.1:
	s_add_u32 s10, s9, 0
	s_addc_u32 s11, 0, 0
	s_xor_b64 s[10:11], s[10:11], 0
	v_cvt_f32_u32_e32 v1, s10
	v_cvt_f32_u32_e32 v2, s11
	s_sub_u32 s14, 0, s10
	s_subb_u32 s15, 0, s11
	v_fmamk_f32 v1, v2, 0x4f800000, v1
	v_rcp_f32_e32 v1, v1
	v_mul_f32_e32 v1, 0x5f7ffffc, v1
	v_mul_f32_e32 v2, 0x2f800000, v1
	v_trunc_f32_e32 v2, v2
	v_fmamk_f32 v1, v2, 0xcf800000, v1
	v_cvt_u32_f32_e32 v2, v2
	v_cvt_u32_f32_e32 v1, v1
	v_readfirstlane_b32 s12, v2
	v_readfirstlane_b32 s13, v1
	s_mul_i32 s19, s14, s12
	s_mul_hi_u32 s21, s14, s13
	s_mul_i32 s20, s15, s13
	s_add_i32 s19, s21, s19
	s_mul_i32 s22, s14, s13
	s_add_i32 s19, s19, s20
	s_mul_hi_u32 s21, s13, s22
	s_mul_i32 s24, s13, s19
	s_mul_hi_u32 s23, s12, s22
	s_mul_i32 s20, s12, s22
	s_mul_hi_u32 s22, s13, s19
	s_add_u32 s21, s21, s24
	s_addc_u32 s22, 0, s22
	s_mul_hi_u32 s25, s12, s19
	s_add_u32 s20, s21, s20
	s_mul_i32 s19, s12, s19
	s_addc_u32 s20, s22, s23
	s_addc_u32 s21, s25, 0
	s_add_u32 s19, s20, s19
	s_addc_u32 s20, 0, s21
	s_add_u32 s13, s13, s19
	s_cselect_b32 s19, -1, 0
	s_mul_hi_u32 s21, s14, s13
	s_cmp_lg_u32 s19, 0
	s_mul_i32 s19, s14, s13
	s_addc_u32 s12, s12, s20
	s_mul_i32 s15, s15, s13
	s_mul_i32 s14, s14, s12
	s_mul_hi_u32 s20, s13, s19
	s_add_i32 s14, s21, s14
	s_mul_hi_u32 s21, s12, s19
	s_add_i32 s14, s14, s15
	s_mul_i32 s15, s12, s19
	s_mul_i32 s23, s13, s14
	s_mul_hi_u32 s22, s13, s14
	s_add_u32 s20, s20, s23
	s_addc_u32 s22, 0, s22
	s_mul_hi_u32 s19, s12, s14
	s_add_u32 s15, s20, s15
	s_mul_i32 s14, s12, s14
	s_addc_u32 s15, s22, s21
	s_addc_u32 s19, s19, 0
	s_add_u32 s14, s15, s14
	s_addc_u32 s15, 0, s19
	s_add_u32 s19, s13, s14
	s_cselect_b32 s13, -1, 0
	s_cmp_lg_u32 s13, 0
	s_addc_u32 s20, s12, s15
	s_ashr_i32 s12, s17, 31
	s_add_u32 s14, s18, s12
	s_mov_b32 s13, s12
	s_addc_u32 s15, s17, s12
	s_xor_b64 s[14:15], s[14:15], s[12:13]
	s_mul_i32 s21, s14, s20
	s_mul_hi_u32 s22, s14, s19
	s_mul_hi_u32 s17, s14, s20
	;; [unrolled: 1-line block ×3, first 2 shown]
	s_mul_i32 s19, s15, s19
	s_add_u32 s21, s22, s21
	s_addc_u32 s17, 0, s17
	s_mul_hi_u32 s23, s15, s20
	s_add_u32 s19, s21, s19
	s_mul_i32 s20, s15, s20
	s_addc_u32 s17, s17, s24
	s_addc_u32 s19, s23, 0
	s_add_u32 s17, s17, s20
	s_addc_u32 s19, 0, s19
	s_mul_hi_u32 s20, s10, s17
	s_mul_i32 s21, s10, s19
	s_mul_i32 s22, s11, s17
	s_add_i32 s20, s20, s21
	s_mul_i32 s21, s10, s17
	s_add_i32 s20, s20, s22
	s_sub_i32 s22, s15, s20
	s_sub_u32 s14, s14, s21
	s_cselect_b32 s21, -1, 0
	s_cmp_lg_u32 s21, 0
	s_subb_u32 s22, s22, s11
	s_sub_u32 s23, s14, s10
	s_cselect_b32 s24, -1, 0
	s_cmp_lg_u32 s24, 0
	s_subb_u32 s22, s22, 0
	s_cmp_ge_u32 s22, s11
	s_cselect_b32 s24, -1, 0
	s_cmp_ge_u32 s23, s10
	s_cselect_b32 s23, -1, 0
	s_cmp_eq_u32 s22, s11
	s_cselect_b32 s22, s23, s24
	s_add_u32 s23, s17, 1
	s_addc_u32 s24, s19, 0
	s_add_u32 s25, s17, 2
	s_addc_u32 s26, s19, 0
	s_cmp_lg_u32 s22, 0
	s_cselect_b32 s22, s25, s23
	s_cselect_b32 s23, s26, s24
	s_cmp_lg_u32 s21, 0
	s_subb_u32 s15, s15, s20
	s_cmp_ge_u32 s15, s11
	s_cselect_b32 s20, -1, 0
	s_cmp_ge_u32 s14, s10
	s_cselect_b32 s10, -1, 0
	s_cmp_eq_u32 s15, s11
	s_cselect_b32 s10, s10, s20
	s_cmp_lg_u32 s10, 0
	s_cselect_b32 s11, s23, s19
	s_cselect_b32 s10, s22, s17
	s_xor_b64 s[12:13], s[12:13], 0
	s_xor_b64 s[10:11], s[10:11], s[12:13]
	s_sub_u32 s10, s10, s12
	s_load_dwordx4 s[12:15], s[4:5], 0x44
	s_andn2_b32 vcc_lo, exec_lo, s16
	s_cbranch_vccnz .LBB25_3
.LBB25_2:
	v_cvt_f32_u32_e32 v1, s9
	s_sub_i32 s11, 0, s9
	v_rcp_iflag_f32_e32 v1, v1
	v_mul_f32_e32 v1, 0x4f7ffffe, v1
	v_cvt_u32_f32_e32 v1, v1
	v_readfirstlane_b32 s10, v1
	s_mul_i32 s11, s11, s10
	s_mul_hi_u32 s11, s10, s11
	s_add_i32 s10, s10, s11
	s_mul_hi_u32 s10, s18, s10
	s_mul_i32 s11, s10, s9
	s_waitcnt lgkmcnt(0)
	s_add_i32 s15, s10, 1
	s_sub_i32 s11, s18, s11
	s_sub_i32 s16, s11, s9
	s_cmp_ge_u32 s11, s9
	s_cselect_b32 s10, s15, s10
	s_cselect_b32 s11, s16, s11
	s_add_i32 s15, s10, 1
	s_cmp_ge_u32 s11, s9
	s_cselect_b32 s10, s15, s10
.LBB25_3:
	s_add_i32 s11, s6, 1
	s_mov_b32 s16, 0
	s_mul_hi_i32 s17, s3, s11
	s_mul_i32 s11, s3, s11
	s_cmp_lg_u64 s[16:17], 0
	s_cbranch_scc0 .LBB25_22
; %bb.4:
	s_add_u32 s18, s9, 0
	s_addc_u32 s19, 0, 0
	s_xor_b64 s[18:19], s[18:19], 0
	v_cvt_f32_u32_e32 v1, s18
	v_cvt_f32_u32_e32 v2, s19
	s_sub_u32 s21, 0, s18
	s_subb_u32 s22, 0, s19
	v_fmamk_f32 v1, v2, 0x4f800000, v1
	v_rcp_f32_e32 v1, v1
	v_mul_f32_e32 v1, 0x5f7ffffc, v1
	v_mul_f32_e32 v2, 0x2f800000, v1
	v_trunc_f32_e32 v2, v2
	v_fmamk_f32 v1, v2, 0xcf800000, v1
	v_cvt_u32_f32_e32 v2, v2
	v_cvt_u32_f32_e32 v1, v1
	s_waitcnt lgkmcnt(0)
	v_readfirstlane_b32 s15, v2
	v_readfirstlane_b32 s20, v1
	s_mul_i32 s23, s21, s15
	s_mul_hi_u32 s25, s21, s20
	s_mul_i32 s24, s22, s20
	s_add_i32 s23, s25, s23
	s_mul_i32 s26, s21, s20
	s_add_i32 s23, s23, s24
	s_mul_hi_u32 s25, s20, s26
	s_mul_i32 s28, s20, s23
	s_mul_hi_u32 s27, s15, s26
	s_mul_i32 s24, s15, s26
	s_mul_hi_u32 s26, s20, s23
	s_add_u32 s25, s25, s28
	s_addc_u32 s26, 0, s26
	s_mul_hi_u32 s29, s15, s23
	s_add_u32 s24, s25, s24
	s_mul_i32 s23, s15, s23
	s_addc_u32 s24, s26, s27
	s_addc_u32 s25, s29, 0
	s_add_u32 s23, s24, s23
	s_addc_u32 s24, 0, s25
	s_add_u32 s20, s20, s23
	s_cselect_b32 s23, -1, 0
	s_mul_hi_u32 s25, s21, s20
	s_cmp_lg_u32 s23, 0
	s_mul_i32 s23, s21, s20
	s_addc_u32 s15, s15, s24
	s_mul_i32 s22, s22, s20
	s_mul_i32 s21, s21, s15
	s_mul_hi_u32 s24, s20, s23
	s_add_i32 s21, s25, s21
	s_mul_hi_u32 s25, s15, s23
	s_add_i32 s21, s21, s22
	s_mul_i32 s22, s15, s23
	s_mul_i32 s27, s20, s21
	s_mul_hi_u32 s26, s20, s21
	s_add_u32 s24, s24, s27
	s_addc_u32 s26, 0, s26
	s_mul_hi_u32 s23, s15, s21
	s_add_u32 s22, s24, s22
	s_mul_i32 s21, s15, s21
	s_addc_u32 s22, s26, s25
	s_addc_u32 s23, s23, 0
	s_add_u32 s21, s22, s21
	s_addc_u32 s22, 0, s23
	s_add_u32 s24, s20, s21
	s_cselect_b32 s20, -1, 0
	s_cmp_lg_u32 s20, 0
	s_addc_u32 s15, s15, s22
	s_ashr_i32 s20, s17, 31
	s_add_u32 s22, s11, s20
	s_mov_b32 s21, s20
	s_addc_u32 s23, s17, s20
	s_xor_b64 s[22:23], s[22:23], s[20:21]
	s_mul_i32 s25, s22, s15
	s_mul_hi_u32 s26, s22, s24
	s_mul_hi_u32 s17, s22, s15
	s_mul_hi_u32 s28, s23, s24
	s_mul_i32 s24, s23, s24
	s_add_u32 s25, s26, s25
	s_addc_u32 s17, 0, s17
	s_mul_hi_u32 s27, s23, s15
	s_add_u32 s24, s25, s24
	s_mul_i32 s15, s23, s15
	s_addc_u32 s17, s17, s28
	s_addc_u32 s24, s27, 0
	s_add_u32 s15, s17, s15
	s_addc_u32 s17, 0, s24
	s_mul_hi_u32 s24, s18, s15
	s_mul_i32 s25, s18, s17
	s_mul_i32 s26, s19, s15
	s_add_i32 s24, s24, s25
	s_mul_i32 s25, s18, s15
	s_add_i32 s24, s24, s26
	s_sub_i32 s26, s23, s24
	s_sub_u32 s22, s22, s25
	s_cselect_b32 s25, -1, 0
	s_cmp_lg_u32 s25, 0
	s_subb_u32 s26, s26, s19
	s_sub_u32 s27, s22, s18
	s_cselect_b32 s28, -1, 0
	s_cmp_lg_u32 s28, 0
	s_subb_u32 s26, s26, 0
	s_cmp_ge_u32 s26, s19
	s_cselect_b32 s28, -1, 0
	s_cmp_ge_u32 s27, s18
	s_cselect_b32 s27, -1, 0
	s_cmp_eq_u32 s26, s19
	s_cselect_b32 s26, s27, s28
	s_add_u32 s27, s15, 1
	s_addc_u32 s28, s17, 0
	s_add_u32 s29, s15, 2
	s_addc_u32 s30, s17, 0
	s_cmp_lg_u32 s26, 0
	s_cselect_b32 s26, s29, s27
	s_cselect_b32 s27, s30, s28
	s_cmp_lg_u32 s25, 0
	s_subb_u32 s23, s23, s24
	s_cmp_ge_u32 s23, s19
	s_cselect_b32 s24, -1, 0
	s_cmp_ge_u32 s22, s18
	s_cselect_b32 s18, -1, 0
	s_cmp_eq_u32 s23, s19
	s_cselect_b32 s18, s18, s24
	s_cmp_lg_u32 s18, 0
	s_cselect_b32 s19, s27, s17
	s_cselect_b32 s18, s26, s15
	s_xor_b64 s[20:21], s[20:21], 0
	s_xor_b64 s[18:19], s[18:19], s[20:21]
	s_sub_u32 s18, s18, s20
	s_andn2_b32 vcc_lo, exec_lo, s16
	s_cbranch_vccnz .LBB25_6
.LBB25_5:
	v_cvt_f32_u32_e32 v1, s9
	s_sub_i32 s16, 0, s9
	v_rcp_iflag_f32_e32 v1, v1
	v_mul_f32_e32 v1, 0x4f7ffffe, v1
	v_cvt_u32_f32_e32 v1, v1
	s_waitcnt lgkmcnt(0)
	v_readfirstlane_b32 s15, v1
	s_mul_i32 s16, s16, s15
	s_mul_hi_u32 s16, s15, s16
	s_add_i32 s15, s15, s16
	s_mul_hi_u32 s15, s11, s15
	s_mul_i32 s16, s15, s9
	s_sub_i32 s11, s11, s16
	s_add_i32 s16, s15, 1
	s_sub_i32 s17, s11, s9
	s_cmp_ge_u32 s11, s9
	s_cselect_b32 s15, s16, s15
	s_cselect_b32 s11, s17, s11
	s_add_i32 s16, s15, 1
	s_cmp_ge_u32 s11, s9
	s_cselect_b32 s18, s16, s15
.LBB25_6:
	s_cmp_eq_u32 s10, s18
	s_waitcnt lgkmcnt(0)
	s_mul_hi_u32 s11, s10, s12
	s_cselect_b32 s15, -1, 0
	s_add_i32 s11, s11, s10
	s_lshr_b32 s11, s11, s13
	s_mul_i32 s16, s11, s14
	s_cmp_eq_u32 s16, s10
	s_mul_hi_u32 s16, s18, s12
	s_cselect_b32 s17, -1, 0
	s_add_i32 s16, s16, s18
	s_lshr_b32 s16, s16, s13
	s_cmp_eq_u32 s11, s16
	s_mul_i32 s16, s16, s14
	s_cselect_b32 s19, -1, 0
	s_cmp_lg_u32 s16, s18
	s_cselect_b32 s16, -1, 0
	s_or_b32 s15, s15, s17
	s_and_b32 s16, s19, s16
	s_or_b32 s15, s15, s16
	s_and_b32 vcc_lo, exec_lo, s15
	s_cbranch_vccnz .LBB25_24
; %bb.7:
	s_load_dwordx8 s[16:23], s[4:5], 0x20
	s_waitcnt lgkmcnt(0)
	s_mul_hi_u32 s15, s10, s16
	s_load_dword s16, s[4:5], 0x40
	s_add_i32 s15, s15, s10
	s_lshr_b32 s15, s15, s17
	s_mul_i32 s17, s15, s18
	s_sub_i32 s17, s10, s17
	s_mul_hi_u32 s18, s17, s19
	s_add_i32 s18, s17, s18
	s_lshr_b32 s20, s18, s20
	s_mul_i32 s18, s20, s21
	s_sub_i32 s17, s17, s18
	s_mul_hi_u32 s18, s17, s22
	s_add_i32 s18, s17, s18
	s_lshr_b32 s22, s18, s23
	s_waitcnt lgkmcnt(0)
	s_mul_i32 s16, s22, s16
	s_sub_i32 s16, s17, s16
	s_mul_hi_u32 s17, s16, s12
	s_add_i32 s16, s16, s17
	s_lshr_b32 s21, s16, s13
	s_add_i32 s21, s21, s7
	s_cmp_lt_i32 s21, s0
	s_cselect_b32 s16, -1, 0
	s_add_i32 s22, s22, s8
	s_cmp_lt_i32 s22, s2
	s_cselect_b32 s17, -1, 0
	s_and_b32 s16, s16, s17
	s_andn2_b32 vcc_lo, exec_lo, s16
	s_cbranch_vccnz .LBB25_24
; %bb.8:
	s_load_dwordx4 s[16:19], s[4:5], 0x0
	s_mov_b32 s4, 0
	s_lshl_b32 s24, s9, 2
	s_mov_b32 s25, s4
	s_add_i32 s8, s7, s8
	s_lshl_b64 s[24:25], s[24:25], 2
	s_mul_i32 s0, s15, s0
	s_mul_i32 s20, s20, s2
	v_cvt_f32_u32_e32 v3, s9
	v_rcp_iflag_f32_e32 v3, v3
	s_waitcnt lgkmcnt(0)
	s_add_u32 s2, s18, s24
	s_addc_u32 s15, s19, s25
	s_add_i32 s0, s21, s0
	s_add_i32 s5, s22, s20
	s_mul_i32 s0, s0, s1
	v_mul_f32_e32 v3, 0x4f7ffffe, v3
	s_add_i32 s5, s5, s0
	s_add_i32 s0, s8, s6
	v_lshl_or_b32 v1, s5, 8, v0
	s_ashr_i32 s1, s0, 31
	v_cvt_u32_f32_e32 v3, v3
	s_lshl_b64 s[0:1], s[0:1], 3
	v_ashrrev_i32_e32 v2, 31, v1
	s_add_u32 s0, s18, s0
	s_addc_u32 s1, s19, s1
	s_load_dwordx2 s[0:1], s[0:1], 0x0
	v_lshlrev_b64 v[1:2], 2, v[1:2]
	v_add_co_u32 v1, vcc_lo, s16, v1
	v_add_co_ci_u32_e64 v2, null, s17, v2, vcc_lo
	s_add_i32 s17, s6, -1
	s_sub_i32 s16, 0, s9
	global_load_dword v4, v[1:2], off
	s_waitcnt lgkmcnt(0)
	v_mov_b32_e32 v5, s1
	v_mov_b32_e32 v6, s0
.LBB25_9:                               ; =>This Inner Loop Header: Depth=1
	s_mul_hi_i32 s5, s17, s3
	s_mul_i32 s6, s17, s3
	s_cmp_lg_u64 s[4:5], 0
	s_mov_b32 s7, -1
                                        ; implicit-def: $sgpr0_sgpr1
	s_cbranch_scc0 .LBB25_11
; %bb.10:                               ;   in Loop: Header=BB25_9 Depth=1
	s_add_u32 s0, s9, 0
	s_addc_u32 s1, 0, 0
	s_xor_b64 s[0:1], s[0:1], 0
	v_cvt_f32_u32_e32 v7, s0
	v_cvt_f32_u32_e32 v8, s1
	s_sub_u32 s21, 0, s0
	s_subb_u32 s22, 0, s1
	v_fmac_f32_e32 v7, 0x4f800000, v8
	v_rcp_f32_e32 v7, v7
	v_mul_f32_e32 v7, 0x5f7ffffc, v7
	v_mul_f32_e32 v8, 0x2f800000, v7
	v_trunc_f32_e32 v8, v8
	v_fmac_f32_e32 v7, 0xcf800000, v8
	v_cvt_u32_f32_e32 v8, v8
	v_cvt_u32_f32_e32 v7, v7
	v_readfirstlane_b32 s7, v8
	v_readfirstlane_b32 s20, v7
	s_mul_i32 s23, s21, s7
	s_mul_hi_u32 s25, s21, s20
	s_mul_i32 s24, s22, s20
	s_add_i32 s23, s25, s23
	s_mul_i32 s26, s21, s20
	s_add_i32 s23, s23, s24
	s_mul_hi_u32 s25, s20, s26
	s_mul_i32 s28, s20, s23
	s_mul_hi_u32 s27, s7, s26
	s_mul_i32 s24, s7, s26
	s_mul_hi_u32 s26, s20, s23
	s_add_u32 s25, s25, s28
	s_addc_u32 s26, 0, s26
	s_mul_hi_u32 s29, s7, s23
	s_add_u32 s24, s25, s24
	s_mul_i32 s23, s7, s23
	s_addc_u32 s24, s26, s27
	s_addc_u32 s25, s29, 0
	s_add_u32 s23, s24, s23
	s_addc_u32 s24, 0, s25
	s_add_u32 s20, s20, s23
	s_cselect_b32 s23, -1, 0
	s_mul_hi_u32 s25, s21, s20
	s_cmp_lg_u32 s23, 0
	s_mul_i32 s23, s21, s20
	s_addc_u32 s7, s7, s24
	s_mul_i32 s22, s22, s20
	s_mul_i32 s21, s21, s7
	s_mul_hi_u32 s24, s20, s23
	s_add_i32 s21, s25, s21
	s_mul_hi_u32 s25, s7, s23
	s_add_i32 s21, s21, s22
	s_mul_i32 s22, s7, s23
	s_mul_i32 s27, s20, s21
	s_mul_hi_u32 s26, s20, s21
	s_add_u32 s24, s24, s27
	s_addc_u32 s26, 0, s26
	s_mul_hi_u32 s23, s7, s21
	s_add_u32 s22, s24, s22
	s_mul_i32 s21, s7, s21
	s_addc_u32 s22, s26, s25
	s_addc_u32 s23, s23, 0
	s_add_u32 s21, s22, s21
	s_addc_u32 s22, 0, s23
	s_add_u32 s24, s20, s21
	s_cselect_b32 s20, -1, 0
	s_cmp_lg_u32 s20, 0
	s_addc_u32 s7, s7, s22
	s_ashr_i32 s20, s5, 31
	s_add_u32 s22, s6, s20
	s_mov_b32 s21, s20
	s_addc_u32 s23, s5, s20
	s_xor_b64 s[22:23], s[22:23], s[20:21]
	s_mul_i32 s25, s22, s7
	s_mul_hi_u32 s26, s22, s24
	s_mul_hi_u32 s5, s22, s7
	;; [unrolled: 1-line block ×3, first 2 shown]
	s_mul_i32 s24, s23, s24
	s_add_u32 s25, s26, s25
	s_addc_u32 s5, 0, s5
	s_mul_hi_u32 s27, s23, s7
	s_add_u32 s24, s25, s24
	s_mul_i32 s7, s23, s7
	s_addc_u32 s5, s5, s28
	s_addc_u32 s24, s27, 0
	s_add_u32 s5, s5, s7
	s_addc_u32 s7, 0, s24
	s_mul_hi_u32 s24, s0, s5
	s_mul_i32 s25, s0, s7
	s_mul_i32 s26, s1, s5
	s_add_i32 s24, s24, s25
	s_mul_i32 s25, s0, s5
	s_add_i32 s24, s24, s26
	s_sub_i32 s26, s23, s24
	s_sub_u32 s22, s22, s25
	s_cselect_b32 s25, -1, 0
	s_cmp_lg_u32 s25, 0
	s_subb_u32 s26, s26, s1
	s_sub_u32 s27, s22, s0
	s_cselect_b32 s28, -1, 0
	s_cmp_lg_u32 s28, 0
	s_subb_u32 s26, s26, 0
	s_cmp_ge_u32 s26, s1
	s_cselect_b32 s28, -1, 0
	s_cmp_ge_u32 s27, s0
	s_cselect_b32 s27, -1, 0
	s_cmp_eq_u32 s26, s1
	s_cselect_b32 s26, s27, s28
	s_add_u32 s27, s5, 1
	s_addc_u32 s28, s7, 0
	s_add_u32 s29, s5, 2
	s_addc_u32 s30, s7, 0
	s_cmp_lg_u32 s26, 0
	s_cselect_b32 s26, s29, s27
	s_cselect_b32 s27, s30, s28
	s_cmp_lg_u32 s25, 0
	s_subb_u32 s23, s23, s24
	s_cmp_ge_u32 s23, s1
	s_cselect_b32 s24, -1, 0
	s_cmp_ge_u32 s22, s0
	s_cselect_b32 s0, -1, 0
	s_cmp_eq_u32 s23, s1
	s_cselect_b32 s0, s0, s24
	s_cmp_lg_u32 s0, 0
	s_cselect_b32 s1, s27, s7
	s_cselect_b32 s0, s26, s5
	s_xor_b64 s[20:21], s[20:21], 0
	s_mov_b32 s7, 0
	s_xor_b64 s[0:1], s[0:1], s[20:21]
	s_sub_u32 s0, s0, s20
.LBB25_11:                              ;   in Loop: Header=BB25_9 Depth=1
	s_andn2_b32 vcc_lo, exec_lo, s7
	s_cbranch_vccnz .LBB25_13
; %bb.12:                               ;   in Loop: Header=BB25_9 Depth=1
	v_readfirstlane_b32 s0, v3
	s_mul_i32 s1, s16, s0
	s_mul_hi_u32 s1, s0, s1
	s_add_i32 s0, s0, s1
	s_mul_hi_u32 s0, s6, s0
	s_mul_i32 s1, s0, s9
	s_add_i32 s5, s0, 1
	s_sub_i32 s1, s6, s1
	s_sub_i32 s6, s1, s9
	s_cmp_ge_u32 s1, s9
	s_cselect_b32 s0, s5, s0
	s_cselect_b32 s1, s6, s1
	s_add_i32 s5, s0, 1
	s_cmp_ge_u32 s1, s9
	s_cselect_b32 s0, s5, s0
.LBB25_13:                              ;   in Loop: Header=BB25_9 Depth=1
	s_cmp_lg_u32 s10, s0
	s_mov_b32 s6, -1
                                        ; implicit-def: $sgpr5
                                        ; implicit-def: $vgpr8
                                        ; implicit-def: $vgpr7
                                        ; implicit-def: $vgpr9
                                        ; implicit-def: $sgpr1
                                        ; implicit-def: $sgpr20
	s_cbranch_scc0 .LBB25_18
; %bb.14:                               ;   in Loop: Header=BB25_9 Depth=1
	s_add_i32 s21, s17, s8
	s_mov_b32 s7, s4
	s_add_i32 s6, s21, s9
	s_mul_hi_u32 s1, s0, s12
	s_lshl_b64 s[6:7], s[6:7], 3
	s_mov_b32 s20, s10
	s_add_u32 s6, s18, s6
	s_addc_u32 s7, s19, s7
	s_add_i32 s1, s1, s0
	s_lshr_b32 s1, s1, s13
	s_mul_i32 s5, s1, s14
	s_cmp_eq_u32 s5, s0
	s_cselect_b32 s5, -1, 0
	s_cmp_lt_u32 s1, s11
	s_cselect_b32 s1, -1, 0
	s_or_b32 s1, s1, s5
	s_mov_b32 s5, -1
	s_and_b32 vcc_lo, exec_lo, s1
	s_mov_b32 s1, s17
	s_cbranch_vccnz .LBB25_16
; %bb.15:                               ;   in Loop: Header=BB25_9 Depth=1
	s_add_i32 s1, s17, -1
	s_mov_b32 s5, 0
	s_mov_b32 s20, s0
.LBB25_16:                              ;   in Loop: Header=BB25_9 Depth=1
	v_lshl_or_b32 v7, s21, 8, v0
	s_load_dwordx2 s[6:7], s[6:7], 0x0
	v_ashrrev_i32_e32 v8, 31, v7
	v_lshlrev_b64 v[7:8], 2, v[7:8]
	v_add_co_u32 v7, vcc_lo, s2, v7
	v_add_co_ci_u32_e64 v8, null, s15, v8, vcc_lo
	s_waitcnt lgkmcnt(0)
	v_max_f32_e64 v9, s6, s6
	global_load_dword v8, v[7:8], off
	v_max_f32_e32 v7, v6, v6
	v_max_f32_e32 v7, v7, v9
	v_sub_f32_e32 v9, s6, v7
	v_sub_f32_e32 v10, v6, v7
	v_mul_f32_e32 v11, 0x3fb8aa3b, v9
	v_mul_f32_e32 v12, 0x3fb8aa3b, v10
	v_cmp_ngt_f32_e32 vcc_lo, 0xc2ce8ed0, v9
	v_fma_f32 v13, 0x3fb8aa3b, v9, -v11
	v_rndne_f32_e32 v14, v11
	v_fma_f32 v15, 0x3fb8aa3b, v10, -v12
	v_rndne_f32_e32 v16, v12
	v_fmac_f32_e32 v13, 0x32a5705f, v9
	v_sub_f32_e32 v11, v11, v14
	v_fmac_f32_e32 v15, 0x32a5705f, v10
	v_sub_f32_e32 v12, v12, v16
	v_add_f32_e32 v11, v11, v13
	v_cvt_i32_f32_e32 v13, v14
	v_add_f32_e32 v12, v12, v15
	v_cvt_i32_f32_e32 v14, v16
	v_exp_f32_e32 v11, v11
	v_exp_f32_e32 v12, v12
	v_ldexp_f32 v11, v11, v13
	v_ldexp_f32 v12, v12, v14
	v_cndmask_b32_e32 v11, 0, v11, vcc_lo
	v_cmp_ngt_f32_e32 vcc_lo, 0xc2ce8ed0, v10
	v_cndmask_b32_e32 v12, 0, v12, vcc_lo
	v_cmp_nlt_f32_e32 vcc_lo, 0x42b17218, v9
	v_cndmask_b32_e32 v11, 0x7f800000, v11, vcc_lo
	v_cmp_nlt_f32_e32 vcc_lo, 0x42b17218, v10
	v_cndmask_b32_e32 v12, 0x7f800000, v12, vcc_lo
	v_cmp_le_f32_e32 vcc_lo, 0xc1a00000, v9
	v_cndmask_b32_e32 v9, 0, v11, vcc_lo
	v_cmp_le_f32_e32 vcc_lo, 0xc1a00000, v10
	v_cndmask_b32_e32 v10, 0, v12, vcc_lo
	s_waitcnt vmcnt(0)
	v_mul_f32_e32 v8, v8, v9
	v_mul_f32_e32 v9, s7, v9
	v_fmac_f32_e32 v8, v4, v10
	v_fmac_f32_e32 v9, v5, v10
	s_cbranch_execz .LBB25_19
.LBB25_17:                              ;   in Loop: Header=BB25_9 Depth=1
	s_andn2_b32 vcc_lo, exec_lo, s5
	s_cbranch_vccnz .LBB25_20
	s_branch .LBB25_23
.LBB25_18:                              ;   in Loop: Header=BB25_9 Depth=1
	s_andn2_b32 vcc_lo, exec_lo, s6
	s_cbranch_vccnz .LBB25_17
.LBB25_19:                              ;   in Loop: Header=BB25_9 Depth=1
	v_mov_b32_e32 v9, v5
	v_mov_b32_e32 v7, v6
	s_waitcnt vmcnt(0)
	v_mov_b32_e32 v8, v4
	s_add_i32 s1, s17, -1
	s_mov_b32 s20, s10
	s_cbranch_execz .LBB25_23
.LBB25_20:                              ;   in Loop: Header=BB25_9 Depth=1
	v_mov_b32_e32 v5, v9
	v_mov_b32_e32 v6, v7
	s_waitcnt vmcnt(0)
	v_mov_b32_e32 v4, v8
	s_mov_b32 s10, s20
	s_mov_b32 s17, s1
	s_branch .LBB25_9
.LBB25_21:
                                        ; implicit-def: $sgpr10_sgpr11
	s_load_dwordx4 s[12:15], s[4:5], 0x44
	s_branch .LBB25_2
.LBB25_22:
                                        ; implicit-def: $sgpr18_sgpr19
	s_branch .LBB25_5
.LBB25_23:
	v_div_scale_f32 v0, null, v9, v9, v8
	v_rcp_f32_e32 v3, v0
	s_waitcnt vmcnt(0)
	v_fma_f32 v4, -v0, v3, 1.0
	v_fmac_f32_e32 v3, v4, v3
	v_div_scale_f32 v4, vcc_lo, v8, v9, v8
	v_mul_f32_e32 v5, v4, v3
	v_fma_f32 v6, -v0, v5, v4
	v_fmac_f32_e32 v5, v6, v3
	v_fma_f32 v0, -v0, v5, v4
	v_div_fmas_f32 v0, v0, v3, v5
	v_div_fixup_f32 v0, v0, v9, v8
	global_store_dword v[1:2], v0, off
.LBB25_24:
	s_endpgm
	.section	.rodata,"a",@progbits
	.p2align	6, 0x0
	.amdhsa_kernel _ZL33flash_attn_stream_k_fixup_generalILi256ELi1ELi1EEvPfPK15HIP_vector_typeIfLj2EEiiiiS1_IjLj3EES5_S5_S5_
		.amdhsa_group_segment_fixed_size 0
		.amdhsa_private_segment_fixed_size 0
		.amdhsa_kernarg_size 336
		.amdhsa_user_sgpr_count 6
		.amdhsa_user_sgpr_private_segment_buffer 1
		.amdhsa_user_sgpr_dispatch_ptr 0
		.amdhsa_user_sgpr_queue_ptr 0
		.amdhsa_user_sgpr_kernarg_segment_ptr 1
		.amdhsa_user_sgpr_dispatch_id 0
		.amdhsa_user_sgpr_flat_scratch_init 0
		.amdhsa_user_sgpr_private_segment_size 0
		.amdhsa_wavefront_size32 1
		.amdhsa_uses_dynamic_stack 0
		.amdhsa_system_sgpr_private_segment_wavefront_offset 0
		.amdhsa_system_sgpr_workgroup_id_x 1
		.amdhsa_system_sgpr_workgroup_id_y 1
		.amdhsa_system_sgpr_workgroup_id_z 1
		.amdhsa_system_sgpr_workgroup_info 0
		.amdhsa_system_vgpr_workitem_id 0
		.amdhsa_next_free_vgpr 17
		.amdhsa_next_free_sgpr 31
		.amdhsa_reserve_vcc 1
		.amdhsa_reserve_flat_scratch 0
		.amdhsa_float_round_mode_32 0
		.amdhsa_float_round_mode_16_64 0
		.amdhsa_float_denorm_mode_32 3
		.amdhsa_float_denorm_mode_16_64 3
		.amdhsa_dx10_clamp 1
		.amdhsa_ieee_mode 1
		.amdhsa_fp16_overflow 0
		.amdhsa_workgroup_processor_mode 1
		.amdhsa_memory_ordered 1
		.amdhsa_forward_progress 1
		.amdhsa_shared_vgpr_count 0
		.amdhsa_exception_fp_ieee_invalid_op 0
		.amdhsa_exception_fp_denorm_src 0
		.amdhsa_exception_fp_ieee_div_zero 0
		.amdhsa_exception_fp_ieee_overflow 0
		.amdhsa_exception_fp_ieee_underflow 0
		.amdhsa_exception_fp_ieee_inexact 0
		.amdhsa_exception_int_div_zero 0
	.end_amdhsa_kernel
	.section	.text._ZL33flash_attn_stream_k_fixup_generalILi256ELi1ELi1EEvPfPK15HIP_vector_typeIfLj2EEiiiiS1_IjLj3EES5_S5_S5_,"axG",@progbits,_ZL33flash_attn_stream_k_fixup_generalILi256ELi1ELi1EEvPfPK15HIP_vector_typeIfLj2EEiiiiS1_IjLj3EES5_S5_S5_,comdat
.Lfunc_end25:
	.size	_ZL33flash_attn_stream_k_fixup_generalILi256ELi1ELi1EEvPfPK15HIP_vector_typeIfLj2EEiiiiS1_IjLj3EES5_S5_S5_, .Lfunc_end25-_ZL33flash_attn_stream_k_fixup_generalILi256ELi1ELi1EEvPfPK15HIP_vector_typeIfLj2EEiiiiS1_IjLj3EES5_S5_S5_
                                        ; -- End function
	.set _ZL33flash_attn_stream_k_fixup_generalILi256ELi1ELi1EEvPfPK15HIP_vector_typeIfLj2EEiiiiS1_IjLj3EES5_S5_S5_.num_vgpr, 17
	.set _ZL33flash_attn_stream_k_fixup_generalILi256ELi1ELi1EEvPfPK15HIP_vector_typeIfLj2EEiiiiS1_IjLj3EES5_S5_S5_.num_agpr, 0
	.set _ZL33flash_attn_stream_k_fixup_generalILi256ELi1ELi1EEvPfPK15HIP_vector_typeIfLj2EEiiiiS1_IjLj3EES5_S5_S5_.numbered_sgpr, 31
	.set _ZL33flash_attn_stream_k_fixup_generalILi256ELi1ELi1EEvPfPK15HIP_vector_typeIfLj2EEiiiiS1_IjLj3EES5_S5_S5_.num_named_barrier, 0
	.set _ZL33flash_attn_stream_k_fixup_generalILi256ELi1ELi1EEvPfPK15HIP_vector_typeIfLj2EEiiiiS1_IjLj3EES5_S5_S5_.private_seg_size, 0
	.set _ZL33flash_attn_stream_k_fixup_generalILi256ELi1ELi1EEvPfPK15HIP_vector_typeIfLj2EEiiiiS1_IjLj3EES5_S5_S5_.uses_vcc, 1
	.set _ZL33flash_attn_stream_k_fixup_generalILi256ELi1ELi1EEvPfPK15HIP_vector_typeIfLj2EEiiiiS1_IjLj3EES5_S5_S5_.uses_flat_scratch, 0
	.set _ZL33flash_attn_stream_k_fixup_generalILi256ELi1ELi1EEvPfPK15HIP_vector_typeIfLj2EEiiiiS1_IjLj3EES5_S5_S5_.has_dyn_sized_stack, 0
	.set _ZL33flash_attn_stream_k_fixup_generalILi256ELi1ELi1EEvPfPK15HIP_vector_typeIfLj2EEiiiiS1_IjLj3EES5_S5_S5_.has_recursion, 0
	.set _ZL33flash_attn_stream_k_fixup_generalILi256ELi1ELi1EEvPfPK15HIP_vector_typeIfLj2EEiiiiS1_IjLj3EES5_S5_S5_.has_indirect_call, 0
	.section	.AMDGPU.csdata,"",@progbits
; Kernel info:
; codeLenInByte = 2900
; TotalNumSgprs: 33
; NumVgprs: 17
; ScratchSize: 0
; MemoryBound: 0
; FloatMode: 240
; IeeeMode: 1
; LDSByteSize: 0 bytes/workgroup (compile time only)
; SGPRBlocks: 0
; VGPRBlocks: 2
; NumSGPRsForWavesPerEU: 33
; NumVGPRsForWavesPerEU: 17
; Occupancy: 16
; WaveLimiterHint : 0
; COMPUTE_PGM_RSRC2:SCRATCH_EN: 0
; COMPUTE_PGM_RSRC2:USER_SGPR: 6
; COMPUTE_PGM_RSRC2:TRAP_HANDLER: 0
; COMPUTE_PGM_RSRC2:TGID_X_EN: 1
; COMPUTE_PGM_RSRC2:TGID_Y_EN: 1
; COMPUTE_PGM_RSRC2:TGID_Z_EN: 1
; COMPUTE_PGM_RSRC2:TIDIG_COMP_CNT: 0
	.section	.text._ZL26flash_attn_combine_resultsILi256EEvPKfPK15HIP_vector_typeIfLj2EEPfi,"axG",@progbits,_ZL26flash_attn_combine_resultsILi256EEvPKfPK15HIP_vector_typeIfLj2EEPfi,comdat
	.globl	_ZL26flash_attn_combine_resultsILi256EEvPKfPK15HIP_vector_typeIfLj2EEPfi ; -- Begin function _ZL26flash_attn_combine_resultsILi256EEvPKfPK15HIP_vector_typeIfLj2EEPfi
	.p2align	8
	.type	_ZL26flash_attn_combine_resultsILi256EEvPKfPK15HIP_vector_typeIfLj2EEPfi,@function
_ZL26flash_attn_combine_resultsILi256EEvPKfPK15HIP_vector_typeIfLj2EEPfi: ; @_ZL26flash_attn_combine_resultsILi256EEvPKfPK15HIP_vector_typeIfLj2EEPfi
; %bb.0:
	s_clause 0x3
	s_load_dwordx2 s[2:3], s[4:5], 0x20
	s_load_dword s9, s[4:5], 0x18
	s_load_dwordx4 s[12:15], s[4:5], 0x0
	s_load_dwordx2 s[10:11], s[4:5], 0x10
	v_lshlrev_b32_e32 v5, 2, v0
	s_mov_b32 s4, exec_lo
	s_waitcnt lgkmcnt(0)
	s_mul_i32 s0, s2, s8
	s_lshl_b32 s1, s9, 1
	s_add_i32 s0, s0, s6
	s_mul_i32 s6, s0, s3
	s_add_i32 s6, s6, s7
	s_mul_i32 s2, s6, s9
	v_cmpx_gt_i32_e64 s1, v0
	s_cbranch_execz .LBB26_3
; %bb.1:
	s_ashr_i32 s3, s2, 31
	v_add_nc_u32_e32 v3, 0, v5
	s_lshl_b64 s[16:17], s[2:3], 3
	v_mov_b32_e32 v4, v0
	s_add_u32 s0, s14, s16
	s_addc_u32 s3, s15, s17
	v_add_co_u32 v1, s0, s0, v5
	v_add_co_ci_u32_e64 v2, null, s3, 0, s0
	s_mov_b32 s3, 0
	.p2align	6
.LBB26_2:                               ; =>This Inner Loop Header: Depth=1
	global_load_dword v6, v[1:2], off
	v_add_nc_u32_e32 v4, 0x100, v4
	v_add_co_u32 v1, vcc_lo, 0x400, v1
	v_add_co_ci_u32_e64 v2, null, 0, v2, vcc_lo
	v_cmp_le_i32_e64 s0, s1, v4
	s_or_b32 s3, s0, s3
	s_waitcnt vmcnt(0)
	ds_write_b32 v3, v6
	v_add_nc_u32_e32 v3, 0x400, v3
	s_andn2_b32 exec_lo, exec_lo, s3
	s_cbranch_execnz .LBB26_2
.LBB26_3:
	s_or_b32 exec_lo, exec_lo, s4
	v_mov_b32_e32 v1, 0
	s_waitcnt lgkmcnt(0)
	s_barrier
	buffer_gl0_inv
	s_cmp_lt_i32 s9, 2
	ds_read_b32 v6, v1
	s_cbranch_scc1 .LBB26_11
; %bb.4:
	s_add_i32 s1, s9, -2
	s_add_i32 s0, s9, -1
	s_cmp_lt_u32 s1, 7
	s_cbranch_scc1 .LBB26_8
; %bb.5:
	s_mov_b32 s3, 0
	s_add_i32 s1, 0, 8
	s_and_b32 s4, s0, -8
	.p2align	6
.LBB26_6:                               ; =>This Inner Loop Header: Depth=1
	v_mov_b32_e32 v9, s1
	s_mov_b32 s5, s3
	s_add_i32 s3, s3, 8
	s_add_i32 s1, s1, 64
	s_cmp_eq_u32 s4, s3
	ds_read2_b32 v[1:2], v9 offset1:2
	ds_read2_b32 v[3:4], v9 offset0:4 offset1:6
	ds_read2_b32 v[7:8], v9 offset0:8 offset1:10
	;; [unrolled: 1-line block ×3, first 2 shown]
	s_waitcnt lgkmcnt(3)
	v_max3_f32 v1, v6, v1, v2
	s_waitcnt lgkmcnt(2)
	v_max3_f32 v1, v1, v3, v4
	;; [unrolled: 2-line block ×4, first 2 shown]
	s_cbranch_scc0 .LBB26_6
; %bb.7:
	s_add_i32 s1, s5, 9
	s_and_b32 s0, s0, 7
	s_cmp_eq_u32 s0, 0
	s_cbranch_scc0 .LBB26_9
	s_branch .LBB26_11
.LBB26_8:
	s_mov_b32 s1, 1
	s_and_b32 s0, s0, 7
	s_cmp_eq_u32 s0, 0
	s_cbranch_scc1 .LBB26_11
.LBB26_9:
	s_lshl_b32 s1, s1, 3
	s_add_i32 s1, s1, 0
.LBB26_10:                              ; =>This Inner Loop Header: Depth=1
	v_mov_b32_e32 v1, s1
	s_waitcnt lgkmcnt(0)
	v_max_f32_e32 v2, v6, v6
	s_add_i32 s0, s0, -1
	s_add_i32 s1, s1, 8
	s_cmp_lg_u32 s0, 0
	ds_read_b32 v1, v1
	s_waitcnt lgkmcnt(0)
	v_max_f32_e32 v1, v1, v1
	v_max_f32_e32 v6, v2, v1
	s_cbranch_scc1 .LBB26_10
.LBB26_11:
	s_cmp_lt_i32 s9, 1
	s_cbranch_scc1 .LBB26_16
; %bb.12:
	s_lshl_b32 s0, s2, 8
	s_ashr_i32 s1, s0, 31
	s_lshl_b64 s[0:1], s[0:1], 2
	s_add_u32 s7, s12, s0
	s_addc_u32 s8, s13, s1
	s_cmp_lt_u32 s9, 8
	s_cbranch_scc1 .LBB26_17
; %bb.13:
	v_or_b32_e32 v1, 0x700, v0
	v_mov_b32_e32 v4, 0
	v_mov_b32_e32 v7, 0
	v_mov_b32_e32 v8, 0
	s_and_b32 s12, s9, 0x7ffffff8
	s_mov_b32 s13, 0
	s_mov_b32 s14, 0
.LBB26_14:                              ; =>This Inner Loop Header: Depth=1
	v_add_nc_u32_e32 v3, 0xfffff900, v1
	v_mov_b32_e32 v2, v4
	v_mov_b32_e32 v21, s14
	s_add_i32 s13, s13, 8
	s_add_i32 s14, s14, 64
	v_lshlrev_b64 v[9:10], 2, v[3:4]
	v_add_nc_u32_e32 v3, 0xfffffa00, v1
	v_lshlrev_b64 v[11:12], 2, v[1:2]
	s_cmp_eq_u32 s12, s13
	v_lshlrev_b64 v[13:14], 2, v[3:4]
	v_add_nc_u32_e32 v3, 0xfffffb00, v1
	v_add_co_u32 v9, vcc_lo, s7, v9
	v_add_co_ci_u32_e64 v10, null, s8, v10, vcc_lo
	v_add_co_u32 v13, vcc_lo, s7, v13
	v_lshlrev_b64 v[15:16], 2, v[3:4]
	v_add_nc_u32_e32 v3, 0xfffffc00, v1
	v_add_co_ci_u32_e64 v14, null, s8, v14, vcc_lo
	s_clause 0x1
	global_load_dword v25, v[9:10], off
	global_load_dword v26, v[13:14], off
	v_lshlrev_b64 v[9:10], 2, v[3:4]
	v_add_nc_u32_e32 v3, 0xfffffd00, v1
	v_add_co_u32 v13, vcc_lo, s7, v15
	v_add_co_ci_u32_e64 v14, null, s8, v16, vcc_lo
	v_add_co_u32 v9, vcc_lo, s7, v9
	v_lshlrev_b64 v[15:16], 2, v[3:4]
	v_add_nc_u32_e32 v3, 0xfffffe00, v1
	v_add_co_ci_u32_e64 v10, null, s8, v10, vcc_lo
	s_clause 0x1
	global_load_dword v27, v[13:14], off
	global_load_dword v28, v[9:10], off
	v_lshlrev_b64 v[13:14], 2, v[3:4]
	v_add_nc_u32_e32 v3, 0xffffff00, v1
	v_add_co_u32 v9, vcc_lo, s7, v15
	v_add_co_ci_u32_e64 v10, null, s8, v16, vcc_lo
	v_add_co_u32 v13, vcc_lo, s7, v13
	v_lshlrev_b64 v[2:3], 2, v[3:4]
	v_add_co_ci_u32_e64 v14, null, s8, v14, vcc_lo
	s_clause 0x1
	global_load_dword v29, v[9:10], off
	global_load_dword v30, v[13:14], off
	v_add_co_u32 v2, vcc_lo, s7, v2
	v_add_co_ci_u32_e64 v3, null, s8, v3, vcc_lo
	v_add_co_u32 v9, vcc_lo, s7, v11
	v_add_co_ci_u32_e64 v10, null, s8, v12, vcc_lo
	s_clause 0x1
	global_load_dword v2, v[2:3], off
	global_load_dword v3, v[9:10], off
	ds_read2_b64 v[9:12], v21 offset1:1
	ds_read2_b64 v[13:16], v21 offset0:2 offset1:3
	ds_read2_b64 v[17:20], v21 offset0:4 offset1:5
	ds_read2_b64 v[21:24], v21 offset0:6 offset1:7
	v_add_nc_u32_e32 v1, 0x800, v1
	s_waitcnt lgkmcnt(3)
	v_sub_f32_e32 v9, v9, v6
	v_sub_f32_e32 v11, v11, v6
	s_waitcnt lgkmcnt(2)
	v_sub_f32_e32 v13, v13, v6
	v_sub_f32_e32 v15, v15, v6
	s_waitcnt lgkmcnt(1)
	v_sub_f32_e32 v17, v17, v6
	v_mul_f32_e32 v31, 0x3fb8aa3b, v9
	v_mul_f32_e32 v32, 0x3fb8aa3b, v11
	;; [unrolled: 1-line block ×4, first 2 shown]
	v_sub_f32_e32 v19, v19, v6
	v_fma_f32 v39, 0x3fb8aa3b, v9, -v31
	v_rndne_f32_e32 v40, v31
	v_fma_f32 v41, 0x3fb8aa3b, v11, -v32
	v_rndne_f32_e32 v42, v32
	v_fma_f32 v43, 0x3fb8aa3b, v13, -v33
	v_fmac_f32_e32 v39, 0x32a5705f, v9
	v_sub_f32_e32 v31, v31, v40
	v_rndne_f32_e32 v44, v33
	v_fmac_f32_e32 v41, 0x32a5705f, v11
	v_sub_f32_e32 v32, v32, v42
	v_fmac_f32_e32 v43, 0x32a5705f, v13
	v_add_f32_e32 v31, v31, v39
	v_sub_f32_e32 v33, v33, v44
	v_mul_f32_e32 v35, 0x3fb8aa3b, v17
	v_add_f32_e32 v32, v32, v41
	v_fma_f32 v45, 0x3fb8aa3b, v15, -v34
	v_exp_f32_e32 v31, v31
	v_rndne_f32_e32 v46, v34
	v_add_f32_e32 v33, v33, v43
	v_cvt_i32_f32_e32 v40, v40
	v_exp_f32_e32 v32, v32
	s_waitcnt lgkmcnt(0)
	v_sub_f32_e32 v21, v21, v6
	v_mul_f32_e32 v36, 0x3fb8aa3b, v19
	v_fma_f32 v47, 0x3fb8aa3b, v17, -v35
	v_rndne_f32_e32 v48, v35
	v_cvt_i32_f32_e32 v42, v42
	v_fmac_f32_e32 v45, 0x32a5705f, v15
	v_sub_f32_e32 v34, v34, v46
	v_exp_f32_e32 v33, v33
	v_ldexp_f32 v31, v31, v40
	v_cmp_ngt_f32_e64 s5, 0xc2ce8ed0, v9
	v_sub_f32_e32 v23, v23, v6
	v_mul_f32_e32 v37, 0x3fb8aa3b, v21
	v_fma_f32 v49, 0x3fb8aa3b, v19, -v36
	v_rndne_f32_e32 v50, v36
	v_cvt_i32_f32_e32 v44, v44
	v_fmac_f32_e32 v47, 0x32a5705f, v17
	v_sub_f32_e32 v35, v35, v48
	v_add_f32_e32 v34, v34, v45
	v_ldexp_f32 v32, v32, v42
	v_cndmask_b32_e64 v31, 0, v31, s5
	v_cmp_ngt_f32_e64 s5, 0xc2ce8ed0, v11
	v_mul_f32_e32 v38, 0x3fb8aa3b, v23
	v_fma_f32 v51, 0x3fb8aa3b, v21, -v37
	v_rndne_f32_e32 v39, v37
	v_fmac_f32_e32 v49, 0x32a5705f, v19
	v_sub_f32_e32 v36, v36, v50
	v_add_f32_e32 v35, v35, v47
	v_exp_f32_e32 v34, v34
	v_ldexp_f32 v33, v33, v44
	v_cmp_ngt_f32_e32 vcc_lo, 0xc2ce8ed0, v13
	v_cndmask_b32_e64 v32, 0, v32, s5
	v_cmp_nlt_f32_e64 s5, 0x42b17218, v9
	v_fma_f32 v41, 0x3fb8aa3b, v23, -v38
	v_rndne_f32_e32 v43, v38
	v_cvt_i32_f32_e32 v46, v46
	v_fmac_f32_e32 v51, 0x32a5705f, v21
	v_sub_f32_e32 v37, v37, v39
	v_add_f32_e32 v36, v36, v49
	v_exp_f32_e32 v35, v35
	v_cndmask_b32_e64 v9, 0x7f800000, v31, s5
	v_cndmask_b32_e32 v31, 0, v33, vcc_lo
	v_cmp_nlt_f32_e32 vcc_lo, 0x42b17218, v11
	v_cvt_i32_f32_e32 v48, v48
	v_fmac_f32_e32 v41, 0x32a5705f, v23
	v_sub_f32_e32 v38, v38, v43
	v_add_f32_e32 v37, v37, v51
	v_exp_f32_e32 v36, v36
	v_ldexp_f32 v34, v34, v46
	v_cmp_ngt_f32_e64 s0, 0xc2ce8ed0, v15
	v_cndmask_b32_e32 v11, 0x7f800000, v32, vcc_lo
	v_fmac_f32_e32 v8, v9, v10
	v_cmp_nlt_f32_e32 vcc_lo, 0x42b17218, v13
	v_cvt_i32_f32_e32 v50, v50
	v_add_f32_e32 v38, v38, v41
	v_exp_f32_e32 v37, v37
	v_ldexp_f32 v35, v35, v48
	v_cmp_ngt_f32_e64 s1, 0xc2ce8ed0, v17
	v_cndmask_b32_e32 v10, 0x7f800000, v31, vcc_lo
	v_fmac_f32_e32 v8, v11, v12
	v_cmp_nlt_f32_e32 vcc_lo, 0x42b17218, v15
	v_cvt_i32_f32_e32 v39, v39
	v_exp_f32_e32 v38, v38
	v_ldexp_f32 v36, v36, v50
	v_cmp_ngt_f32_e64 s2, 0xc2ce8ed0, v19
	v_fmac_f32_e32 v8, v10, v14
	v_cvt_i32_f32_e32 v43, v43
	v_ldexp_f32 v37, v37, v39
	v_cmp_ngt_f32_e64 s3, 0xc2ce8ed0, v21
	v_cmp_ngt_f32_e64 s4, 0xc2ce8ed0, v23
	v_ldexp_f32 v38, v38, v43
	s_waitcnt vmcnt(7)
	v_fmac_f32_e32 v7, v25, v9
	v_cndmask_b32_e64 v9, 0, v34, s0
	s_waitcnt vmcnt(6)
	v_fmac_f32_e32 v7, v26, v11
	v_cndmask_b32_e64 v11, 0, v35, s1
	v_cndmask_b32_e32 v9, 0x7f800000, v9, vcc_lo
	v_cmp_nlt_f32_e32 vcc_lo, 0x42b17218, v17
	v_fmac_f32_e32 v8, v9, v16
	v_cndmask_b32_e32 v11, 0x7f800000, v11, vcc_lo
	v_cmp_nlt_f32_e32 vcc_lo, 0x42b17218, v19
	s_waitcnt vmcnt(5)
	v_fmac_f32_e32 v7, v27, v10
	v_cndmask_b32_e64 v10, 0, v36, s2
	v_fmac_f32_e32 v8, v11, v18
	s_waitcnt vmcnt(4)
	v_fmac_f32_e32 v7, v28, v9
	v_cndmask_b32_e64 v9, 0, v37, s3
	v_cndmask_b32_e32 v10, 0x7f800000, v10, vcc_lo
	v_cmp_nlt_f32_e32 vcc_lo, 0x42b17218, v21
	v_fmac_f32_e32 v8, v10, v20
	v_cndmask_b32_e32 v9, 0x7f800000, v9, vcc_lo
	v_cmp_nlt_f32_e32 vcc_lo, 0x42b17218, v23
	s_waitcnt vmcnt(3)
	v_fmac_f32_e32 v7, v29, v11
	v_cndmask_b32_e64 v11, 0, v38, s4
	v_fmac_f32_e32 v8, v9, v22
	s_waitcnt vmcnt(2)
	v_fmac_f32_e32 v7, v30, v10
	v_cndmask_b32_e32 v10, 0x7f800000, v11, vcc_lo
	s_waitcnt vmcnt(1)
	v_fmac_f32_e32 v7, v2, v9
	v_fmac_f32_e32 v8, v10, v24
	s_waitcnt vmcnt(0)
	v_fmac_f32_e32 v7, v3, v10
	s_cbranch_scc0 .LBB26_14
; %bb.15:
	s_and_b32 s0, s9, 7
	s_cmp_eq_u32 s0, 0
	s_cbranch_scc0 .LBB26_18
	s_branch .LBB26_20
.LBB26_16:
	v_mov_b32_e32 v0, 0x7fc00000
	s_branch .LBB26_21
.LBB26_17:
	v_mov_b32_e32 v7, 0
	v_mov_b32_e32 v8, 0
	s_mov_b32 s12, 0
	s_and_b32 s0, s9, 7
	s_cmp_eq_u32 s0, 0
	s_cbranch_scc1 .LBB26_20
.LBB26_18:
	v_lshl_or_b32 v0, s12, 8, v0
	v_mov_b32_e32 v1, 0
	s_lshl_b32 s1, s12, 3
	s_add_i32 s1, s1, 0
	s_inst_prefetch 0x1
	.p2align	6
.LBB26_19:                              ; =>This Inner Loop Header: Depth=1
	v_lshlrev_b64 v[2:3], 2, v[0:1]
	v_add_nc_u32_e32 v0, 0x100, v0
	s_add_i32 s0, s0, -1
	v_add_co_u32 v2, vcc_lo, s7, v2
	v_add_co_ci_u32_e64 v3, null, s8, v3, vcc_lo
	global_load_dword v4, v[2:3], off
	v_mov_b32_e32 v2, s1
	s_add_i32 s1, s1, 8
	s_cmp_lg_u32 s0, 0
	ds_read_b64 v[2:3], v2
	s_waitcnt lgkmcnt(0)
	v_sub_f32_e32 v2, v2, v6
	v_mul_f32_e32 v9, 0x3fb8aa3b, v2
	v_cmp_ngt_f32_e32 vcc_lo, 0xc2ce8ed0, v2
	v_fma_f32 v10, 0x3fb8aa3b, v2, -v9
	v_rndne_f32_e32 v11, v9
	v_fmac_f32_e32 v10, 0x32a5705f, v2
	v_sub_f32_e32 v9, v9, v11
	v_add_f32_e32 v9, v9, v10
	v_cvt_i32_f32_e32 v10, v11
	v_exp_f32_e32 v9, v9
	v_ldexp_f32 v9, v9, v10
	v_cndmask_b32_e32 v9, 0, v9, vcc_lo
	v_cmp_nlt_f32_e32 vcc_lo, 0x42b17218, v2
	v_cndmask_b32_e32 v2, 0x7f800000, v9, vcc_lo
	v_fmac_f32_e32 v8, v2, v3
	s_waitcnt vmcnt(0)
	v_fmac_f32_e32 v7, v4, v2
	s_cbranch_scc1 .LBB26_19
.LBB26_20:
	s_inst_prefetch 0x2
	v_div_scale_f32 v0, null, v8, v8, v7
	v_rcp_f32_e32 v1, v0
	v_fma_f32 v2, -v0, v1, 1.0
	v_fmac_f32_e32 v1, v2, v1
	v_div_scale_f32 v2, vcc_lo, v7, v8, v7
	v_mul_f32_e32 v3, v2, v1
	v_fma_f32 v4, -v0, v3, v2
	v_fmac_f32_e32 v3, v4, v1
	v_fma_f32 v0, -v0, v3, v2
	v_div_fmas_f32 v0, v0, v1, v3
	v_div_fixup_f32 v0, v0, v8, v7
.LBB26_21:
	s_lshl_b32 s0, s6, 8
	s_ashr_i32 s1, s0, 31
	s_lshl_b64 s[0:1], s[0:1], 2
	s_add_u32 s0, s10, s0
	s_addc_u32 s1, s11, s1
	global_store_dword v5, v0, s[0:1]
	s_endpgm
	.section	.rodata,"a",@progbits
	.p2align	6, 0x0
	.amdhsa_kernel _ZL26flash_attn_combine_resultsILi256EEvPKfPK15HIP_vector_typeIfLj2EEPfi
		.amdhsa_group_segment_fixed_size 0
		.amdhsa_private_segment_fixed_size 0
		.amdhsa_kernarg_size 288
		.amdhsa_user_sgpr_count 6
		.amdhsa_user_sgpr_private_segment_buffer 1
		.amdhsa_user_sgpr_dispatch_ptr 0
		.amdhsa_user_sgpr_queue_ptr 0
		.amdhsa_user_sgpr_kernarg_segment_ptr 1
		.amdhsa_user_sgpr_dispatch_id 0
		.amdhsa_user_sgpr_flat_scratch_init 0
		.amdhsa_user_sgpr_private_segment_size 0
		.amdhsa_wavefront_size32 1
		.amdhsa_uses_dynamic_stack 0
		.amdhsa_system_sgpr_private_segment_wavefront_offset 0
		.amdhsa_system_sgpr_workgroup_id_x 1
		.amdhsa_system_sgpr_workgroup_id_y 1
		.amdhsa_system_sgpr_workgroup_id_z 1
		.amdhsa_system_sgpr_workgroup_info 0
		.amdhsa_system_vgpr_workitem_id 0
		.amdhsa_next_free_vgpr 52
		.amdhsa_next_free_sgpr 18
		.amdhsa_reserve_vcc 1
		.amdhsa_reserve_flat_scratch 0
		.amdhsa_float_round_mode_32 0
		.amdhsa_float_round_mode_16_64 0
		.amdhsa_float_denorm_mode_32 3
		.amdhsa_float_denorm_mode_16_64 3
		.amdhsa_dx10_clamp 1
		.amdhsa_ieee_mode 1
		.amdhsa_fp16_overflow 0
		.amdhsa_workgroup_processor_mode 1
		.amdhsa_memory_ordered 1
		.amdhsa_forward_progress 1
		.amdhsa_shared_vgpr_count 0
		.amdhsa_exception_fp_ieee_invalid_op 0
		.amdhsa_exception_fp_denorm_src 0
		.amdhsa_exception_fp_ieee_div_zero 0
		.amdhsa_exception_fp_ieee_overflow 0
		.amdhsa_exception_fp_ieee_underflow 0
		.amdhsa_exception_fp_ieee_inexact 0
		.amdhsa_exception_int_div_zero 0
	.end_amdhsa_kernel
	.section	.text._ZL26flash_attn_combine_resultsILi256EEvPKfPK15HIP_vector_typeIfLj2EEPfi,"axG",@progbits,_ZL26flash_attn_combine_resultsILi256EEvPKfPK15HIP_vector_typeIfLj2EEPfi,comdat
.Lfunc_end26:
	.size	_ZL26flash_attn_combine_resultsILi256EEvPKfPK15HIP_vector_typeIfLj2EEPfi, .Lfunc_end26-_ZL26flash_attn_combine_resultsILi256EEvPKfPK15HIP_vector_typeIfLj2EEPfi
                                        ; -- End function
	.set _ZL26flash_attn_combine_resultsILi256EEvPKfPK15HIP_vector_typeIfLj2EEPfi.num_vgpr, 52
	.set _ZL26flash_attn_combine_resultsILi256EEvPKfPK15HIP_vector_typeIfLj2EEPfi.num_agpr, 0
	.set _ZL26flash_attn_combine_resultsILi256EEvPKfPK15HIP_vector_typeIfLj2EEPfi.numbered_sgpr, 18
	.set _ZL26flash_attn_combine_resultsILi256EEvPKfPK15HIP_vector_typeIfLj2EEPfi.num_named_barrier, 0
	.set _ZL26flash_attn_combine_resultsILi256EEvPKfPK15HIP_vector_typeIfLj2EEPfi.private_seg_size, 0
	.set _ZL26flash_attn_combine_resultsILi256EEvPKfPK15HIP_vector_typeIfLj2EEPfi.uses_vcc, 1
	.set _ZL26flash_attn_combine_resultsILi256EEvPKfPK15HIP_vector_typeIfLj2EEPfi.uses_flat_scratch, 0
	.set _ZL26flash_attn_combine_resultsILi256EEvPKfPK15HIP_vector_typeIfLj2EEPfi.has_dyn_sized_stack, 0
	.set _ZL26flash_attn_combine_resultsILi256EEvPKfPK15HIP_vector_typeIfLj2EEPfi.has_recursion, 0
	.set _ZL26flash_attn_combine_resultsILi256EEvPKfPK15HIP_vector_typeIfLj2EEPfi.has_indirect_call, 0
	.section	.AMDGPU.csdata,"",@progbits
; Kernel info:
; codeLenInByte = 2264
; TotalNumSgprs: 20
; NumVgprs: 52
; ScratchSize: 0
; MemoryBound: 0
; FloatMode: 240
; IeeeMode: 1
; LDSByteSize: 0 bytes/workgroup (compile time only)
; SGPRBlocks: 0
; VGPRBlocks: 6
; NumSGPRsForWavesPerEU: 20
; NumVGPRsForWavesPerEU: 52
; Occupancy: 16
; WaveLimiterHint : 0
; COMPUTE_PGM_RSRC2:SCRATCH_EN: 0
; COMPUTE_PGM_RSRC2:USER_SGPR: 6
; COMPUTE_PGM_RSRC2:TRAP_HANDLER: 0
; COMPUTE_PGM_RSRC2:TGID_X_EN: 1
; COMPUTE_PGM_RSRC2:TGID_Y_EN: 1
; COMPUTE_PGM_RSRC2:TGID_Z_EN: 1
; COMPUTE_PGM_RSRC2:TIDIG_COMP_CNT: 0
	.section	.text._ZL18flash_attn_ext_vecILi256ELi1EL9ggml_type2ELS0_8ELb1EEvPKcS2_S2_S2_S2_PKiPfP15HIP_vector_typeIfLj2EEffffjfiS6_IjLj3EEiiiiiiiiiiiliiliiiiil,"axG",@progbits,_ZL18flash_attn_ext_vecILi256ELi1EL9ggml_type2ELS0_8ELb1EEvPKcS2_S2_S2_S2_PKiPfP15HIP_vector_typeIfLj2EEffffjfiS6_IjLj3EEiiiiiiiiiiiliiliiiiil,comdat
	.globl	_ZL18flash_attn_ext_vecILi256ELi1EL9ggml_type2ELS0_8ELb1EEvPKcS2_S2_S2_S2_PKiPfP15HIP_vector_typeIfLj2EEffffjfiS6_IjLj3EEiiiiiiiiiiiliiliiiiil ; -- Begin function _ZL18flash_attn_ext_vecILi256ELi1EL9ggml_type2ELS0_8ELb1EEvPKcS2_S2_S2_S2_PKiPfP15HIP_vector_typeIfLj2EEffffjfiS6_IjLj3EEiiiiiiiiiiiliiliiiiil
	.p2align	8
	.type	_ZL18flash_attn_ext_vecILi256ELi1EL9ggml_type2ELS0_8ELb1EEvPKcS2_S2_S2_S2_PKiPfP15HIP_vector_typeIfLj2EEffffjfiS6_IjLj3EEiiiiiiiiiiiliiliiiiil,@function
_ZL18flash_attn_ext_vecILi256ELi1EL9ggml_type2ELS0_8ELb1EEvPKcS2_S2_S2_S2_PKiPfP15HIP_vector_typeIfLj2EEffffjfiS6_IjLj3EEiiiiiiiiiiiliiliiiiil: ; @_ZL18flash_attn_ext_vecILi256ELi1EL9ggml_type2ELS0_8ELb1EEvPKcS2_S2_S2_S2_PKiPfP15HIP_vector_typeIfLj2EEffffjfiS6_IjLj3EEiiiiiiiiiiiliiliiiiil
; %bb.0:
	s_clause 0x4
	s_load_dwordx2 s[28:29], s[4:5], 0x64
	s_load_dwordx2 s[34:35], s[4:5], 0x80
	;; [unrolled: 1-line block ×3, first 2 shown]
	s_load_dwordx4 s[24:27], s[4:5], 0x40
	s_load_dwordx2 s[36:37], s[4:5], 0x50
	v_mov_b32_e32 v67, 1.0
	s_waitcnt lgkmcnt(0)
	v_cvt_f32_u32_e32 v2, s29
	s_sub_i32 s1, 0, s29
	v_rcp_iflag_f32_e32 v2, v2
	v_mul_f32_e32 v2, 0x4f7ffffe, v2
	v_cvt_u32_f32_e32 v2, v2
	v_readfirstlane_b32 s0, v2
	s_mul_i32 s1, s1, s0
	s_mul_hi_u32 s1, s0, s1
	s_add_i32 s0, s0, s1
	s_mul_hi_u32 s0, s8, s0
	s_mul_i32 s1, s0, s29
	s_add_i32 s2, s0, 1
	s_sub_i32 s1, s8, s1
	s_sub_i32 s3, s1, s29
	s_cmp_ge_u32 s1, s29
	s_cselect_b32 s0, s2, s0
	s_cselect_b32 s1, s3, s1
	s_add_i32 s2, s0, 1
	s_cmp_ge_u32 s1, s29
	s_cselect_b32 s33, s2, s0
	s_abs_i32 s0, s35
	s_abs_i32 s9, s29
	v_cvt_f32_u32_e32 v2, s0
	s_sub_i32 s2, 0, s0
	s_xor_b32 s3, s29, s35
	s_ashr_i32 s3, s3, 31
	v_rcp_iflag_f32_e32 v2, v2
	v_mul_f32_e32 v2, 0x4f7ffffe, v2
	v_cvt_u32_f32_e32 v2, v2
	v_readfirstlane_b32 s1, v2
	s_mul_i32 s2, s2, s1
	s_mul_hi_u32 s2, s1, s2
	s_add_i32 s1, s1, s2
	s_mul_i32 s2, s33, s29
	s_mul_hi_u32 s1, s9, s1
	s_sub_i32 s30, s8, s2
	s_mul_i32 s10, s1, s0
	s_add_i32 s8, s1, 1
	s_sub_i32 s2, s9, s10
	s_sub_i32 s9, s2, s0
	s_cmp_ge_u32 s2, s0
	s_cselect_b32 s1, s8, s1
	s_cselect_b32 s2, s9, s2
	s_add_i32 s8, s1, 1
	s_cmp_ge_u32 s2, s0
	s_cselect_b32 s0, s8, s1
	s_abs_i32 s42, s38
	s_xor_b32 s0, s0, s3
	v_cvt_f32_u32_e32 v2, s42
	s_sub_i32 s35, s0, s3
	v_cmp_le_f32_e64 s0, s25, 0
	s_abs_i32 s44, s35
	s_abs_i32 s45, s30
	v_cvt_f32_u32_e32 v3, s44
	v_rcp_iflag_f32_e32 v2, v2
	s_and_b32 vcc_lo, exec_lo, s0
	s_sub_i32 s0, 0, s42
	s_sub_i32 s1, 0, s44
	v_rcp_iflag_f32_e32 v3, v3
	s_abs_i32 s43, s33
	v_mul_f32_e32 v2, 0x4f7ffffe, v2
	v_mul_f32_e32 v3, 0x4f7ffffe, v3
	v_cvt_u32_f32_e32 v2, v2
	v_cvt_u32_f32_e32 v3, v3
	v_readfirstlane_b32 s3, v2
	v_readfirstlane_b32 s25, v3
	s_mul_i32 s0, s0, s3
	s_mul_hi_u32 s0, s3, s0
	s_mul_i32 s1, s1, s25
	s_add_i32 s3, s3, s0
	s_mul_hi_u32 s1, s25, s1
	s_add_i32 s25, s25, s1
	s_cbranch_vccnz .LBB27_2
; %bb.1:
	v_sub_co_u32 v3, vcc_lo, s30, s36
	v_mov_b32_e32 v2, s26
	s_add_i32 s0, s30, 1
	v_lshlrev_b32_e32 v3, 1, v3
	v_cndmask_b32_e32 v2, s27, v2, vcc_lo
	v_or_b32_e32 v3, 1, v3
	v_cndmask_b32_e64 v3, v3, s0, vcc_lo
	v_cmp_neq_f32_e32 vcc_lo, 1.0, v2
	s_mov_b32 s0, 0x3e76c4e1
	v_cvt_f32_i32_e32 v3, v3
	v_cndmask_b32_e32 v4, 1.0, v3, vcc_lo
	v_cmp_neq_f32_e32 vcc_lo, 0, v4
	v_cndmask_b32_e32 v5, 1.0, v2, vcc_lo
	v_frexp_mant_f32_e64 v2, |v5|
	v_cmp_eq_f32_e64 s2, 0, v5
	v_cmp_gt_f32_e32 vcc_lo, 0x3f2aaaab, v2
	v_cndmask_b32_e64 v3, 1.0, 2.0, vcc_lo
	v_mul_f32_e32 v2, v2, v3
	v_add_f32_e32 v3, 1.0, v2
	v_add_f32_e32 v7, -1.0, v2
	v_rcp_f32_e32 v6, v3
	v_add_f32_e32 v9, -1.0, v3
	v_sub_f32_e32 v2, v2, v9
	v_mul_f32_e32 v8, v7, v6
	v_mul_f32_e32 v10, v3, v8
	v_fma_f32 v3, v8, v3, -v10
	v_fmac_f32_e32 v3, v8, v2
	v_add_f32_e32 v2, v10, v3
	v_sub_f32_e32 v9, v7, v2
	v_sub_f32_e32 v10, v2, v10
	;; [unrolled: 1-line block ×5, first 2 shown]
	v_add_f32_e32 v2, v3, v2
	v_add_f32_e32 v2, v9, v2
	v_mul_f32_e32 v2, v6, v2
	v_add_f32_e32 v6, v8, v2
	v_sub_f32_e32 v3, v6, v8
	v_mul_f32_e32 v7, v6, v6
	v_sub_f32_e32 v8, v2, v3
	v_fma_f32 v2, v6, v6, -v7
	v_add_f32_e32 v3, v8, v8
	v_fmac_f32_e32 v2, v6, v3
	v_add_f32_e32 v9, v7, v2
	v_fmaak_f32 v3, s0, v9, 0x3e91f4c4
	v_sub_f32_e32 v7, v9, v7
	v_mul_f32_e32 v14, v6, v9
	v_fmaak_f32 v3, v9, v3, 0x3ecccdef
	v_sub_f32_e32 v7, v2, v7
	v_fma_f32 v15, v9, v6, -v14
	v_mul_f32_e32 v10, v9, v3
	v_fmac_f32_e32 v15, v9, v8
	v_ldexp_f32 v8, v8, 1
	v_fma_f32 v11, v9, v3, -v10
	v_fmac_f32_e32 v15, v7, v6
	v_fmac_f32_e32 v11, v7, v3
	v_cvt_f64_f32_e64 v[2:3], |v5|
	v_add_f32_e32 v12, v10, v11
	v_sub_f32_e32 v10, v12, v10
	v_add_f32_e32 v13, 0x3f2aaaaa, v12
	v_sub_f32_e32 v10, v11, v10
	v_add_f32_e32 v11, 0xbf2aaaaa, v13
	v_add_f32_e32 v10, 0x31739010, v10
	v_sub_f32_e32 v11, v12, v11
	v_frexp_exp_i32_f64_e32 v2, v[2:3]
	v_add_f32_e32 v9, v10, v11
	v_add_f32_e32 v10, v14, v15
	;; [unrolled: 1-line block ×3, first 2 shown]
	v_sub_f32_e32 v12, v10, v14
	v_sub_f32_e32 v3, v13, v7
	v_mul_f32_e32 v11, v10, v7
	v_sub_f32_e32 v12, v15, v12
	v_add_f32_e32 v3, v9, v3
	v_fma_f32 v9, v10, v7, -v11
	v_subrev_co_ci_u32_e64 v2, null, 0, v2, vcc_lo
	v_fmac_f32_e32 v9, v10, v3
	v_ldexp_f32 v3, v6, 1
	v_cvt_f32_i32_e32 v2, v2
	v_fmac_f32_e32 v9, v12, v7
	v_add_f32_e32 v6, v11, v9
	v_add_f32_e32 v7, v3, v6
	v_sub_f32_e32 v10, v6, v11
	v_mul_f32_e32 v11, 0x3f317218, v2
	v_sub_f32_e32 v3, v7, v3
	v_sub_f32_e32 v9, v9, v10
	v_fma_f32 v10, 0x3f317218, v2, -v11
	v_sub_f32_e32 v3, v6, v3
	v_add_f32_e32 v6, v8, v9
	v_fmamk_f32 v2, v2, 0xb102e308, v10
	v_add_f32_e32 v3, v6, v3
	v_add_f32_e32 v6, v11, v2
	;; [unrolled: 1-line block ×3, first 2 shown]
	v_sub_f32_e32 v11, v6, v11
	v_add_f32_e32 v9, v6, v8
	v_sub_f32_e32 v7, v8, v7
	v_sub_f32_e32 v2, v2, v11
	;; [unrolled: 1-line block ×6, first 2 shown]
	v_add_f32_e32 v8, v2, v3
	v_sub_f32_e32 v6, v6, v12
	v_add_f32_e32 v6, v7, v6
	v_sub_f32_e32 v7, v8, v2
	;; [unrolled: 2-line block ×3, first 2 shown]
	v_sub_f32_e32 v3, v3, v7
	v_add_f32_e32 v10, v9, v6
	v_sub_f32_e32 v2, v2, v8
	v_sub_f32_e32 v7, v10, v9
	v_add_f32_e32 v2, v3, v2
	v_sub_f32_e32 v3, v6, v7
	v_add_f32_e32 v2, v2, v3
	v_add_f32_e32 v3, v10, v2
	v_sub_f32_e32 v6, v3, v10
	v_mul_f32_e32 v7, v4, v3
	v_sub_f32_e32 v2, v2, v6
	v_fma_f32 v3, v4, v3, -v7
	v_cmp_class_f32_e64 vcc_lo, v7, 0x204
	v_fmac_f32_e32 v3, v4, v2
	v_add_f32_e32 v2, v7, v3
	v_cndmask_b32_e32 v6, v2, v7, vcc_lo
	v_sub_f32_e32 v2, v2, v7
	v_cmp_eq_f32_e32 vcc_lo, 0x42b17218, v6
	v_sub_f32_e32 v2, v3, v2
	v_cndmask_b32_e64 v8, 0, 0x37000000, vcc_lo
	v_cmp_neq_f32_e64 vcc_lo, 0x7f800000, |v6|
	v_sub_f32_e32 v9, v6, v8
	v_cndmask_b32_e32 v2, 0, v2, vcc_lo
	v_trunc_f32_e32 v6, v4
	v_mul_f32_e32 v10, 0x3fb8aa3b, v9
	v_cmp_ngt_f32_e32 vcc_lo, 0xc2ce8ed0, v9
	v_add_f32_e32 v2, v8, v2
	v_fma_f32 v11, 0x3fb8aa3b, v9, -v10
	v_rndne_f32_e32 v12, v10
	v_fmamk_f32 v11, v9, 0x32a5705f, v11
	v_sub_f32_e32 v10, v10, v12
	v_cvt_i32_f32_e32 v7, v12
	v_add_f32_e32 v10, v10, v11
	v_exp_f32_e32 v10, v10
	v_ldexp_f32 v3, v10, v7
	v_mul_f32_e32 v7, 0.5, v4
	v_cndmask_b32_e32 v3, 0, v3, vcc_lo
	v_cmp_nlt_f32_e32 vcc_lo, 0x42b17218, v9
	v_trunc_f32_e32 v10, v7
	v_cndmask_b32_e32 v3, 0x7f800000, v3, vcc_lo
	v_cmp_eq_f32_e32 vcc_lo, v6, v4
	v_cmp_neq_f32_e64 s0, v10, v7
	v_fma_f32 v2, v3, v2, v3
	v_cmp_class_f32_e64 s1, v3, 0x204
	s_and_b32 s0, vcc_lo, s0
	v_cndmask_b32_e64 v6, 1.0, v5, s0
	v_cndmask_b32_e64 v2, v2, v3, s1
	v_cmp_gt_f32_e64 s1, 0, v4
	v_bfi_b32 v2, 0x7fffffff, v2, v6
	s_xor_b32 s1, s1, s2
	v_cndmask_b32_e64 v6, 0, v5, s0
	v_cndmask_b32_e64 v3, 0x7f800000, 0, s1
	v_cmp_class_f32_e64 s0, v5, 0x204
	v_cndmask_b32_e32 v4, 0x7fc00000, v2, vcc_lo
	v_cmp_gt_f32_e32 vcc_lo, 0, v5
	v_bfi_b32 v3, 0x7fffffff, v3, v6
	v_cndmask_b32_e32 v2, v2, v4, vcc_lo
	s_or_b32 vcc_lo, s2, s0
	v_cndmask_b32_e32 v2, v2, v3, vcc_lo
	v_cmp_o_f32_e32 vcc_lo, v5, v5
	v_cndmask_b32_e32 v67, 0x7fc00000, v2, vcc_lo
.LBB27_2:
	s_load_dwordx16 s[8:23], s[4:5], 0x0
	v_cmp_eq_u32_e64 s0, 0, v1
	v_mbcnt_lo_u32_b32 v66, -1, 0
	s_mul_hi_u32 s36, s45, s25
	s_mul_hi_u32 s48, s43, s3
	s_and_saveexec_b32 s25, s0
	s_cbranch_execz .LBB27_11
; %bb.3:
	s_load_dwordx4 s[52:55], s[4:5], 0x70
	v_lshlrev_b32_e32 v15, 4, v0
	v_xor_b32_e32 v6, 4, v66
	v_xor_b32_e32 v8, 2, v66
	v_xor_b32_e32 v10, 1, v66
	v_cmp_gt_i32_e32 vcc_lo, 32, v6
	s_waitcnt lgkmcnt(0)
	s_mul_i32 s1, s33, s54
	s_mul_i32 s2, s52, s6
	;; [unrolled: 1-line block ×3, first 2 shown]
	s_add_i32 s1, s1, s2
	s_add_i32 s1, s1, s3
	s_ashr_i32 s3, s1, 31
	s_add_u32 s2, s8, s1
	s_addc_u32 s3, s9, s3
	s_mov_b32 s8, exec_lo
	global_load_dwordx4 v[2:5], v15, s[2:3]
	s_waitcnt vmcnt(0)
	v_mul_f32_e32 v9, s24, v2
	v_mul_f32_e32 v11, s24, v3
	v_cndmask_b32_e32 v3, v66, v6, vcc_lo
	v_mul_f32_e32 v13, s24, v4
	v_mul_f32_e32 v12, s24, v5
	v_cmp_gt_i32_e32 vcc_lo, 32, v8
	v_max_f32_e64 v7, |v9|, |v11|
	v_lshlrev_b32_e32 v6, 2, v3
	v_fma_f32 v2, s24, v2, v11
	v_cndmask_b32_e32 v8, v66, v8, vcc_lo
	v_max3_f32 v3, v7, |v13|, |v12|
	v_cmp_gt_i32_e32 vcc_lo, 32, v10
	v_fmac_f32_e32 v2, s24, v4
	v_lshlrev_b32_e32 v8, 2, v8
	ds_bpermute_b32 v7, v6, v3
	v_cndmask_b32_e32 v10, v66, v10, vcc_lo
	v_fmac_f32_e32 v2, s24, v5
	ds_bpermute_b32 v5, v6, v2
	s_waitcnt lgkmcnt(1)
	v_max_f32_e32 v7, v7, v7
	v_max_f32_e32 v3, v3, v7
	s_waitcnt lgkmcnt(0)
	v_add_f32_e32 v2, v2, v5
	ds_bpermute_b32 v7, v8, v3
	s_waitcnt lgkmcnt(0)
	v_max_f32_e32 v14, v7, v7
	v_lshlrev_b32_e32 v7, 2, v10
	v_max_f32_e32 v3, v3, v14
	ds_bpermute_b32 v10, v7, v3
	s_waitcnt lgkmcnt(0)
	v_max_f32_e32 v4, v10, v10
	ds_bpermute_b32 v10, v8, v2
	v_max_f32_e32 v3, v3, v4
	v_div_scale_f32 v4, null, 0x42fe0000, 0x42fe0000, v3
	v_div_scale_f32 v16, vcc_lo, v3, 0x42fe0000, v3
	v_rcp_f32_e32 v14, v4
	v_fma_f32 v5, -v4, v14, 1.0
	v_fmac_f32_e32 v14, v5, v14
	s_waitcnt lgkmcnt(0)
	v_add_f32_e32 v5, v2, v10
	v_mul_f32_e32 v17, v16, v14
	ds_bpermute_b32 v10, v7, v5
	v_fma_f32 v18, -v4, v17, v16
	v_fmac_f32_e32 v17, v18, v14
	v_fma_f32 v2, -v4, v17, v16
	v_div_fmas_f32 v2, v2, v14, v17
	v_mov_b32_e32 v14, 0
	v_div_fixup_f32 v4, v2, 0x42fe0000, v3
	v_add_co_u32 v2, s1, s2, v15
	v_add_co_ci_u32_e64 v3, null, s3, 0, s1
	v_cmpx_neq_f32_e32 0, v4
	s_cbranch_execz .LBB27_5
; %bb.4:
	v_div_scale_f32 v14, null, v4, v4, v9
	v_div_scale_f32 v15, null, v4, v4, v11
	;; [unrolled: 1-line block ×3, first 2 shown]
	v_rcp_f32_e32 v16, v14
	v_div_scale_f32 v18, null, v4, v4, v12
	v_rcp_f32_e32 v19, v15
	v_rcp_f32_e32 v20, v17
	v_div_scale_f32 v24, vcc_lo, v9, v4, v9
	v_rcp_f32_e32 v21, v18
	v_fma_f32 v22, -v14, v16, 1.0
	v_fma_f32 v23, -v15, v19, 1.0
	;; [unrolled: 1-line block ×3, first 2 shown]
	v_fmac_f32_e32 v16, v22, v16
	v_div_scale_f32 v22, s1, v11, v4, v11
	v_fma_f32 v26, -v18, v21, 1.0
	v_fmac_f32_e32 v19, v23, v19
	v_fmac_f32_e32 v20, v25, v20
	v_div_scale_f32 v23, s2, v13, v4, v13
	v_fmac_f32_e32 v21, v26, v21
	v_mul_f32_e32 v26, v24, v16
	v_mul_f32_e32 v27, v22, v19
	;; [unrolled: 1-line block ×3, first 2 shown]
	v_div_scale_f32 v25, s3, v12, v4, v12
	v_fma_f32 v30, -v14, v26, v24
	v_fma_f32 v31, -v15, v27, v22
	;; [unrolled: 1-line block ×3, first 2 shown]
	v_mul_f32_e32 v29, v25, v21
	v_fmac_f32_e32 v26, v30, v16
	v_fmac_f32_e32 v27, v31, v19
	;; [unrolled: 1-line block ×3, first 2 shown]
	v_fma_f32 v33, -v18, v29, v25
	v_fma_f32 v14, -v14, v26, v24
	;; [unrolled: 1-line block ×4, first 2 shown]
	v_fmac_f32_e32 v29, v33, v21
	v_div_fmas_f32 v14, v14, v16, v26
	s_mov_b32 vcc_lo, s1
	v_div_fmas_f32 v15, v15, v19, v27
	s_mov_b32 vcc_lo, s2
	v_div_fixup_f32 v9, v14, v4, v9
	v_div_fmas_f32 v16, v17, v20, v28
	v_fma_f32 v17, -v18, v29, v25
	s_mov_b32 vcc_lo, s3
	v_div_fixup_f32 v11, v15, v4, v11
	v_div_fixup_f32 v13, v16, v4, v13
	v_div_fmas_f32 v16, v17, v21, v29
	v_trunc_f32_e32 v15, v11
	v_trunc_f32_e32 v17, v13
	v_div_fixup_f32 v12, v16, v4, v12
	v_trunc_f32_e32 v16, v9
	v_sub_f32_e32 v19, v11, v15
	v_sub_f32_e32 v14, v13, v17
	v_trunc_f32_e32 v18, v12
	v_sub_f32_e32 v21, v9, v16
	v_cmp_ge_f32_e64 s1, |v14|, 0.5
	v_sub_f32_e32 v20, v12, v18
	v_cndmask_b32_e64 v14, 0, 1.0, s1
	v_cmp_ge_f32_e64 s1, |v19|, 0.5
	v_bfi_b32 v13, 0x7fffffff, v14, v13
	v_cndmask_b32_e64 v14, 0, 1.0, s1
	v_cmp_ge_f32_e64 s1, |v20|, 0.5
	v_add_f32_e32 v13, v17, v13
	v_bfi_b32 v11, 0x7fffffff, v14, v11
	v_cndmask_b32_e64 v19, 0, 1.0, s1
	v_cmp_ge_f32_e64 s1, |v21|, 0.5
	v_mov_b32_e32 v14, 8
	v_cvt_i32_f32_e32 v13, v13
	v_add_f32_e32 v11, v15, v11
	v_bfi_b32 v12, 0x7fffffff, v19, v12
	v_cndmask_b32_e64 v17, 0, 1.0, s1
	v_and_b32_e32 v13, 0xff, v13
	v_cvt_i32_f32_e32 v11, v11
	v_add_f32_e32 v12, v18, v12
	v_bfi_b32 v9, 0x7fffffff, v17, v9
	v_lshlrev_b32_e32 v13, 16, v13
	v_lshlrev_b32_sdwa v11, v14, v11 dst_sel:DWORD dst_unused:UNUSED_PAD src0_sel:DWORD src1_sel:BYTE_0
	v_cvt_i32_f32_e32 v12, v12
	v_add_f32_e32 v9, v16, v9
	v_lshl_or_b32 v12, v12, 24, v13
	v_cvt_i32_f32_e32 v9, v9
	v_and_b32_e32 v9, 0xff, v9
	v_or3_b32 v14, v12, v11, v9
.LBB27_5:
	s_or_b32 exec_lo, exec_lo, s8
	v_and_b32_e32 v11, 7, v0
	v_lshlrev_b32_e32 v9, 2, v0
	v_cmp_eq_u32_e64 s1, 0, v11
	ds_write_b32 v9, v14
	s_and_saveexec_b32 s2, s1
	s_cbranch_execz .LBB27_7
; %bb.6:
	s_waitcnt lgkmcnt(1)
	v_add_f32_e32 v5, v5, v10
	ds_write_b64 v0, v[4:5] offset:256
.LBB27_7:
	s_or_b32 exec_lo, exec_lo, s2
	global_load_dwordx4 v[13:16], v[2:3], off offset:512
	s_mov_b32 s9, exec_lo
	s_waitcnt vmcnt(0)
	v_mul_f32_e32 v5, s24, v13
	s_waitcnt lgkmcnt(1)
	v_mul_f32_e32 v10, s24, v14
	v_mul_f32_e32 v12, s24, v15
	v_mul_f32_e32 v11, s24, v16
	v_max_f32_e64 v2, |v5|, |v10|
	v_fma_f32 v4, s24, v13, v10
	v_max3_f32 v2, v2, |v12|, |v11|
	v_fmac_f32_e32 v4, s24, v15
	ds_bpermute_b32 v3, v6, v2
	v_fmac_f32_e32 v4, s24, v16
	ds_bpermute_b32 v6, v6, v4
	s_waitcnt lgkmcnt(1)
	v_max_f32_e32 v3, v3, v3
	v_max_f32_e32 v2, v2, v3
	ds_bpermute_b32 v3, v8, v2
	s_waitcnt lgkmcnt(0)
	v_max_f32_e32 v3, v3, v3
	v_max_f32_e32 v2, v2, v3
	;; [unrolled: 4-line block ×3, first 2 shown]
	v_add_f32_e32 v3, v4, v6
	v_div_scale_f32 v13, null, 0x42fe0000, 0x42fe0000, v2
	ds_bpermute_b32 v6, v8, v3
	v_div_scale_f32 v8, vcc_lo, v2, 0x42fe0000, v2
	v_rcp_f32_e32 v14, v13
	v_fma_f32 v4, -v13, v14, 1.0
	v_fmac_f32_e32 v14, v4, v14
	s_waitcnt lgkmcnt(0)
	v_add_f32_e32 v3, v3, v6
	v_mul_f32_e32 v15, v8, v14
	v_fma_f32 v4, -v13, v15, v8
	v_fmac_f32_e32 v15, v4, v14
	ds_bpermute_b32 v4, v7, v3
	v_fma_f32 v6, -v13, v15, v8
	v_div_fmas_f32 v6, v6, v14, v15
	v_div_fixup_f32 v2, v6, 0x42fe0000, v2
	v_mov_b32_e32 v6, 0
	v_cmpx_neq_f32_e32 0, v2
	s_cbranch_execz .LBB27_9
; %bb.8:
	v_div_scale_f32 v6, null, v2, v2, v5
	v_div_scale_f32 v7, null, v2, v2, v10
	v_div_scale_f32 v13, null, v2, v2, v12
	v_rcp_f32_e32 v8, v6
	v_div_scale_f32 v14, null, v2, v2, v11
	v_rcp_f32_e32 v15, v7
	v_rcp_f32_e32 v16, v13
	v_div_scale_f32 v20, vcc_lo, v5, v2, v5
	v_rcp_f32_e32 v17, v14
	v_fma_f32 v18, -v6, v8, 1.0
	v_fma_f32 v19, -v7, v15, 1.0
	;; [unrolled: 1-line block ×3, first 2 shown]
	v_fmac_f32_e32 v8, v18, v8
	v_div_scale_f32 v18, s2, v10, v2, v10
	v_fma_f32 v22, -v14, v17, 1.0
	v_fmac_f32_e32 v15, v19, v15
	v_fmac_f32_e32 v16, v21, v16
	v_div_scale_f32 v19, s3, v12, v2, v12
	v_fmac_f32_e32 v17, v22, v17
	v_mul_f32_e32 v22, v20, v8
	v_mul_f32_e32 v23, v18, v15
	;; [unrolled: 1-line block ×3, first 2 shown]
	v_div_scale_f32 v21, s8, v11, v2, v11
	v_fma_f32 v26, -v6, v22, v20
	v_fma_f32 v27, -v7, v23, v18
	;; [unrolled: 1-line block ×3, first 2 shown]
	v_mul_f32_e32 v25, v21, v17
	v_fmac_f32_e32 v22, v26, v8
	v_fmac_f32_e32 v23, v27, v15
	v_fmac_f32_e32 v24, v28, v16
	v_fma_f32 v29, -v14, v25, v21
	v_fma_f32 v6, -v6, v22, v20
	;; [unrolled: 1-line block ×4, first 2 shown]
	v_fmac_f32_e32 v25, v29, v17
	v_div_fmas_f32 v6, v6, v8, v22
	s_mov_b32 vcc_lo, s2
	v_div_fmas_f32 v7, v7, v15, v23
	s_mov_b32 vcc_lo, s3
	v_div_fixup_f32 v5, v6, v2, v5
	v_div_fmas_f32 v8, v13, v16, v24
	v_fma_f32 v13, -v14, v25, v21
	s_mov_b32 vcc_lo, s8
	v_div_fixup_f32 v7, v7, v2, v10
	v_div_fixup_f32 v8, v8, v2, v12
	v_div_fmas_f32 v12, v13, v17, v25
	v_trunc_f32_e32 v13, v8
	v_div_fixup_f32 v6, v12, v2, v11
	v_trunc_f32_e32 v11, v7
	v_trunc_f32_e32 v12, v5
	v_sub_f32_e32 v10, v8, v13
	v_trunc_f32_e32 v14, v6
	v_sub_f32_e32 v15, v7, v11
	v_sub_f32_e32 v17, v5, v12
	v_cmp_ge_f32_e64 s2, |v10|, 0.5
	v_sub_f32_e32 v16, v6, v14
	v_cndmask_b32_e64 v10, 0, 1.0, s2
	v_cmp_ge_f32_e64 s2, |v15|, 0.5
	v_bfi_b32 v8, 0x7fffffff, v10, v8
	v_cndmask_b32_e64 v10, 0, 1.0, s2
	v_cmp_ge_f32_e64 s2, |v16|, 0.5
	v_add_f32_e32 v8, v13, v8
	v_bfi_b32 v7, 0x7fffffff, v10, v7
	v_cndmask_b32_e64 v15, 0, 1.0, s2
	v_cmp_ge_f32_e64 s2, |v17|, 0.5
	v_mov_b32_e32 v10, 8
	v_cvt_i32_f32_e32 v8, v8
	v_add_f32_e32 v7, v11, v7
	v_bfi_b32 v6, 0x7fffffff, v15, v6
	v_cndmask_b32_e64 v13, 0, 1.0, s2
	v_and_b32_e32 v8, 0xff, v8
	v_cvt_i32_f32_e32 v7, v7
	v_add_f32_e32 v6, v14, v6
	v_bfi_b32 v5, 0x7fffffff, v13, v5
	v_lshlrev_b32_e32 v8, 16, v8
	v_lshlrev_b32_sdwa v7, v10, v7 dst_sel:DWORD dst_unused:UNUSED_PAD src0_sel:DWORD src1_sel:BYTE_0
	v_cvt_i32_f32_e32 v6, v6
	v_add_f32_e32 v5, v12, v5
	v_lshl_or_b32 v6, v6, 24, v8
	v_cvt_i32_f32_e32 v5, v5
	v_and_b32_e32 v5, 0xff, v5
	v_or3_b32 v6, v6, v7, v5
.LBB27_9:
	s_or_b32 exec_lo, exec_lo, s9
	ds_write_b32 v9, v6 offset:128
	s_and_b32 exec_lo, exec_lo, s1
	s_cbranch_execz .LBB27_11
; %bb.10:
	s_waitcnt lgkmcnt(1)
	v_add_f32_e32 v3, v3, v4
	ds_write_b64 v0, v[2:3] offset:288
.LBB27_11:
	s_or_b32 exec_lo, exec_lo, s25
	v_and_b32_e32 v21, 1, v0
	v_mov_b32_e32 v76, 0
	s_waitcnt lgkmcnt(0)
	s_barrier
	buffer_gl0_inv
	v_lshlrev_b32_e32 v71, 2, v21
	s_ashr_i32 s31, s30, 31
	s_ashr_i32 s1, s35, 31
	s_ashr_i32 s8, s33, 31
	s_cmp_eq_u64 s[18:19], 0
	ds_read2_b32 v[34:35], v71 offset1:2
	ds_read2_b32 v[36:37], v71 offset0:4 offset1:6
	ds_read2_b32 v[38:39], v71 offset0:8 offset1:10
	;; [unrolled: 1-line block ×3, first 2 shown]
	ds_read_b128 v[2:5], v76 offset:256
	ds_read_b128 v[6:9], v76 offset:272
	;; [unrolled: 1-line block ×4, first 2 shown]
	ds_read2_b32 v[42:43], v71 offset0:16 offset1:18
	ds_read2_b32 v[44:45], v71 offset0:20 offset1:22
	ds_read2_b32 v[46:47], v71 offset0:24 offset1:26
	ds_read2_b32 v[48:49], v71 offset0:28 offset1:30
	ds_read2_b32 v[50:51], v71 offset0:32 offset1:34
	ds_read2_b32 v[52:53], v71 offset0:36 offset1:38
	ds_read2_b32 v[54:55], v71 offset0:40 offset1:42
	ds_read2_b32 v[56:57], v71 offset0:44 offset1:46
	ds_read2_b32 v[58:59], v71 offset0:48 offset1:50
	ds_read2_b32 v[60:61], v71 offset0:52 offset1:54
	ds_read2_b32 v[62:63], v71 offset0:56 offset1:58
	ds_read2_b32 v[64:65], v71 offset0:60 offset1:62
	s_waitcnt lgkmcnt(0)
	s_barrier
	buffer_gl0_inv
	s_cbranch_scc1 .LBB27_13
; %bb.12:
	s_load_dword s2, s[4:5], 0xd0
	s_mov_b32 s3, 0
	s_waitcnt lgkmcnt(0)
	s_mul_i32 s2, s2, s33
	s_add_i32 s2, s2, s6
	s_lshl_b64 s[2:3], s[2:3], 2
	s_add_u32 s2, s18, s2
	s_addc_u32 s3, s19, s3
	s_load_dword s34, s[2:3], 0x0
.LBB27_13:
	v_lshlrev_b32_e32 v18, 5, v1
	v_lshlrev_b32_e32 v70, 2, v0
	s_lshl_b32 s2, s7, 7
	s_mov_b32 s9, 0
	s_waitcnt lgkmcnt(0)
	s_cmp_ge_i32 s2, s34
	v_add_nc_u32_e32 v68, v18, v0
	v_lshlrev_b32_e32 v69, 1, v68
	s_cbranch_scc1 .LBB27_29
; %bb.14:
	s_clause 0x1
	s_load_dwordx4 s[24:27], s[4:5], 0x98
	s_load_dwordx2 s[18:19], s[4:5], 0x8c
	s_mul_i32 s51, s36, s44
	s_xor_b32 s47, s31, s1
	s_sub_i32 s45, s45, s51
	s_add_i32 s49, s36, 1
	s_mul_i32 s46, s39, s6
	s_clause 0x2
	s_load_dwordx2 s[40:41], s[4:5], 0xa8
	s_load_dwordx2 s[38:39], s[4:5], 0xc8
	s_load_dword s50, s[4:5], 0xd4
	s_sub_i32 s51, s45, s44
	s_mul_i32 s48, s48, s42
	v_cmp_eq_u32_e64 s1, 0, v21
	v_xor_b32_e32 v21, 2, v66
	v_xor_b32_e32 v23, 4, v66
	v_and_b32_e32 v20, 0x7e, v0
	v_and_b32_e32 v22, 30, v66
	v_xor_b32_e32 v29, 8, v66
	v_cmp_gt_i32_e32 vcc_lo, 32, v21
	v_xor_b32_e32 v30, 16, v66
	v_lshlrev_b32_e32 v74, 1, v18
	v_xor_b32_e32 v19, 1, v66
	s_waitcnt lgkmcnt(0)
	v_mul_lo_u32 v72, v18, s26
	s_mul_hi_u32 s52, s24, s33
	s_mul_i32 s53, s24, s8
	s_mul_i32 s25, s25, s33
	s_add_i32 s52, s52, s53
	s_mul_i32 s24, s24, s33
	s_add_i32 s52, s52, s25
	s_cmp_ge_u32 s45, s44
	v_add_nc_u32_e32 v73, s26, v72
	s_cselect_b32 s25, s49, s36
	s_cselect_b32 s36, s51, s45
	s_add_i32 s45, s25, 1
	s_cmp_ge_u32 s36, s44
	v_add_nc_u32_e32 v77, s26, v73
	s_cselect_b32 s25, s45, s25
	s_mul_hi_u32 s53, s40, s33
	s_xor_b32 s25, s25, s47
	s_mul_i32 s36, s40, s8
	v_add_nc_u32_e32 v79, s26, v77
	s_sub_i32 s25, s25, s47
	s_mul_i32 s41, s41, s33
	s_mul_i32 s19, s25, s19
	;; [unrolled: 1-line block ×3, first 2 shown]
	v_add_nc_u32_e32 v81, s26, v79
	s_ashr_i32 s27, s19, 31
	s_add_u32 s10, s10, s24
	s_addc_u32 s11, s11, s52
	s_add_u32 s24, s10, s19
	v_add_nc_u32_e32 v82, s26, v81
	s_addc_u32 s27, s11, s27
	s_add_i32 s10, s53, s36
	s_mul_i32 s40, s40, s33
	s_ashr_i32 s11, s25, 31
	v_add_nc_u32_e32 v83, s26, v82
	s_add_i32 s10, s10, s41
	s_add_u32 s12, s12, s40
	s_addc_u32 s10, s13, s10
	s_add_u32 s13, s12, s25
	v_add_nc_u32_e32 v85, s26, v83
	s_addc_u32 s19, s10, s11
	s_sub_i32 s10, s43, s48
	v_cndmask_b32_e32 v21, v66, v21, vcc_lo
	s_sub_i32 s11, s10, s42
	v_add_nc_u32_e32 v88, s26, v85
	s_cmp_ge_u32 s10, s42
	v_cmp_gt_i32_e32 vcc_lo, 32, v23
	s_cselect_b32 s10, s11, s10
	v_add_nc_u32_e32 v18, v18, v20
	v_add_nc_u32_e32 v93, s26, v88
	s_sub_i32 s11, s10, s42
	s_cmp_ge_u32 s10, s42
	v_add_nc_u32_e32 v20, 2, v22
	s_cselect_b32 s10, s11, s10
	v_add_nc_u32_e32 v94, s26, v93
	s_xor_b32 s10, s10, s8
	v_cndmask_b32_e32 v22, v66, v23, vcc_lo
	s_sub_i32 s8, s10, s8
	v_cmp_gt_i32_e32 vcc_lo, 32, v29
	v_add_nc_u32_e32 v95, s26, v94
	s_ashr_i32 s10, s8, 31
	s_mul_hi_u32 s11, s38, s8
	s_mul_i32 s10, s38, s10
	v_cndmask_b32_e32 v23, v66, v29, vcc_lo
	v_add_nc_u32_e32 v96, s26, v95
	v_cmp_gt_i32_e32 vcc_lo, 32, v30
	s_mul_i32 s12, s39, s8
	s_add_i32 s10, s11, s10
	s_mul_i32 s8, s38, s8
	v_add_nc_u32_e32 v97, s26, v96
	s_add_i32 s10, s10, s12
	s_add_u32 s8, s14, s8
	s_mov_b32 s3, s9
	s_addc_u32 s10, s15, s10
	v_add_nc_u32_e32 v98, s26, v97
	s_ashr_i32 s11, s46, 31
	v_cndmask_b32_e32 v29, v66, v30, vcc_lo
	v_cmp_lt_i32_e32 vcc_lo, v19, v20
	s_add_u32 s8, s8, s46
	v_add_nc_u32_e32 v99, s26, v98
	s_addc_u32 s12, s10, s11
	s_lshl_b64 s[10:11], s[2:3], 1
	v_mul_lo_u32 v104, v18, s18
	s_mul_i32 s25, s26, s2
	v_add_nc_u32_e32 v100, s26, v99
	s_add_u32 s3, s8, s10
	s_addc_u32 s12, s12, s11
	v_add_nc_u32_e32 v31, 0x80, v70
	v_cndmask_b32_e32 v19, v66, v19, vcc_lo
	v_add_nc_u32_e32 v101, s26, v100
	s_mul_i32 s36, s18, s2
	s_add_u32 s13, s13, s25
	s_addc_u32 s19, s19, 0
	s_add_u32 s24, s24, s36
	v_add_nc_u32_e32 v103, s26, v101
	s_addc_u32 s25, s27, 0
	s_cmp_lg_u64 s[14:15], 0
	v_mov_b32_e32 v26, 0
	v_bfe_u32 v75, v0, 3, 27
	v_add_nc_u32_e32 v105, s26, v103
	v_and_b32_e32 v78, 28, v70
	v_mov_b32_e32 v28, 0xfeffffff
	v_mov_b32_e32 v80, 0x10001
	;; [unrolled: 1-line block ×3, first 2 shown]
	v_add_nc_u32_e32 v106, s26, v105
	v_mov_b32_e32 v24, 0
	v_mov_b32_e32 v25, 0
	v_lshrrev_b32_e32 v84, 5, v31
	v_and_b32_e32 v86, 28, v31
	v_add_nc_u32_e32 v109, s26, v106
	v_lshlrev_b32_e32 v87, 2, v21
	v_lshlrev_b32_e32 v89, 2, v22
	;; [unrolled: 1-line block ×4, first 2 shown]
	v_add_nc_u32_e32 v110, s26, v109
	v_lshlrev_b32_e32 v92, 1, v18
	v_lshlrev_b32_e32 v102, 2, v19
	v_add_nc_u32_e32 v107, s18, v104
	v_ashrrev_i32_e32 v108, 31, v85
	v_add_nc_u32_e32 v112, s26, v110
	v_ashrrev_i32_e32 v111, 31, v88
	v_ashrrev_i32_e32 v114, 31, v93
	v_ashrrev_i32_e32 v115, 31, v94
	v_ashrrev_i32_e32 v118, 31, v95
	v_add_nc_u32_e32 v113, s26, v112
	v_ashrrev_i32_e32 v120, 31, v96
	v_ashrrev_i32_e32 v121, 31, v97
	v_ashrrev_i32_e32 v122, 31, v98
	;; [unrolled: 5-line block ×5, first 2 shown]
	v_mov_b32_e32 v76, 0
	v_add_nc_u32_e32 v123, s26, v119
	v_ashrrev_i32_e32 v139, 31, v119
	s_cselect_b32 s14, -1, 0
	s_lshl_b32 s8, s50, 7
	s_mov_b32 s35, 0xbbbac73d
	v_add_nc_u32_e32 v128, s26, v123
	v_ashrrev_i32_e32 v140, 31, v123
	s_mul_i32 s15, s8, s18
	s_mul_i32 s18, s8, s26
	s_lshl_b64 s[10:11], s[8:9], 1
	v_add_nc_u32_e32 v133, s26, v128
	v_ashrrev_i32_e32 v141, 31, v128
	v_add_nc_u32_e32 v138, s26, v133
	v_ashrrev_i32_e32 v142, 31, v133
	v_ashrrev_i32_e32 v143, 31, v138
.LBB27_15:                              ; =>This Inner Loop Header: Depth=1
	v_ashrrev_i32_e32 v19, 31, v104
	v_add_co_u32 v18, vcc_lo, s24, v104
	v_mov_b32_e32 v29, 0
	v_mov_b32_e32 v32, 0
	v_add_co_ci_u32_e64 v19, null, s25, v19, vcc_lo
	v_add_co_u32 v20, vcc_lo, v18, v71
	v_mov_b32_e32 v33, 0
	v_add_co_ci_u32_e64 v21, null, 0, v19, vcc_lo
	s_clause 0x1
	global_load_dword v22, v[20:21], off offset:2
	global_load_dword v30, v[20:21], off offset:10
	s_waitcnt vmcnt(1)
	v_and_b32_e32 v23, 0xf0f0f0f, v22
	v_lshrrev_b32_e32 v22, 4, v22
	s_waitcnt vmcnt(0)
	v_and_b32_e32 v31, 0xf0f0f0f, v30
	v_dot4c_i32_i8 v29, v23, v34
	global_load_ushort v23, v[18:19], off
	v_and_b32_e32 v22, 0xf0f0f0f, v22
	v_dot4c_i32_i8 v32, v31, v35
	v_cvt_f32_i32_e32 v29, v29
	v_cvt_f32_i32_e32 v31, v32
	v_mov_b32_e32 v32, 0
	v_fma_f32 v29, v2, v29, -v3
	v_fma_f32 v31, v2, v31, -v3
	s_waitcnt vmcnt(0)
	v_fma_mix_f32 v29, v29, v23, 0 op_sel_hi:[0,1,0]
	v_fma_mix_f32 v29, v31, v23, v29 op_sel_hi:[0,1,0]
	v_mov_b32_e32 v31, 0
	v_dot4c_i32_i8 v31, v22, v36
	v_cvt_f32_i32_e32 v22, v31
	v_fma_f32 v22, v2, v22, -v3
	v_fma_mix_f32 v22, v22, v23, v29 op_sel_hi:[0,1,0]
	v_lshrrev_b32_e32 v29, 4, v30
	v_mov_b32_e32 v30, 0
	v_and_b32_e32 v29, 0xf0f0f0f, v29
	v_dot4c_i32_i8 v30, v29, v37
	v_cvt_f32_i32_e32 v29, v30
	v_mov_b32_e32 v30, 0
	v_fma_f32 v29, v2, v29, -v3
	v_fma_mix_f32 v22, v29, v23, v22 op_sel_hi:[0,1,0]
	global_load_dword v23, v[20:21], off offset:20
	s_waitcnt vmcnt(0)
	v_and_b32_e32 v29, 0xf0f0f0f, v23
	v_lshrrev_b32_e32 v23, 4, v23
	v_dot4c_i32_i8 v30, v29, v38
	global_load_ushort v29, v[18:19], off offset:18
	v_and_b32_e32 v23, 0xf0f0f0f, v23
	v_cvt_f32_i32_e32 v30, v30
	v_fma_f32 v30, v4, v30, -v5
	s_waitcnt vmcnt(0)
	v_fma_mix_f32 v22, v30, v29, v22 op_sel_hi:[0,1,0]
	global_load_dword v30, v[20:21], off offset:28
	s_waitcnt vmcnt(0)
	v_and_b32_e32 v31, 0xf0f0f0f, v30
	v_dot4c_i32_i8 v32, v31, v39
	v_cvt_f32_i32_e32 v31, v32
	v_mov_b32_e32 v32, 0
	v_fma_f32 v31, v4, v31, -v5
	v_fma_mix_f32 v22, v31, v29, v22 op_sel_hi:[0,1,0]
	v_mov_b32_e32 v31, 0
	v_dot4c_i32_i8 v31, v23, v40
	v_cvt_f32_i32_e32 v23, v31
	v_fma_f32 v23, v4, v23, -v5
	v_fma_mix_f32 v22, v23, v29, v22 op_sel_hi:[0,1,0]
	v_lshrrev_b32_e32 v23, 4, v30
	v_mov_b32_e32 v30, 0
	v_and_b32_e32 v23, 0xf0f0f0f, v23
	v_dot4c_i32_i8 v30, v23, v41
	v_cvt_f32_i32_e32 v23, v30
	v_mov_b32_e32 v30, 0
	v_fma_f32 v23, v4, v23, -v5
	v_fma_mix_f32 v22, v23, v29, v22 op_sel_hi:[0,1,0]
	global_load_dword v23, v[20:21], off offset:38
	s_waitcnt vmcnt(0)
	v_and_b32_e32 v29, 0xf0f0f0f, v23
	v_lshrrev_b32_e32 v23, 4, v23
	v_dot4c_i32_i8 v30, v29, v42
	global_load_ushort v29, v[18:19], off offset:36
	v_and_b32_e32 v23, 0xf0f0f0f, v23
	v_cvt_f32_i32_e32 v30, v30
	v_fma_f32 v30, v6, v30, -v7
	s_waitcnt vmcnt(0)
	v_fma_mix_f32 v22, v30, v29, v22 op_sel_hi:[0,1,0]
	global_load_dword v30, v[20:21], off offset:46
	s_waitcnt vmcnt(0)
	v_and_b32_e32 v31, 0xf0f0f0f, v30
	v_dot4c_i32_i8 v32, v31, v43
	v_cvt_f32_i32_e32 v31, v32
	v_mov_b32_e32 v32, 0
	v_fma_f32 v31, v6, v31, -v7
	;; [unrolled: 32-line block ×4, first 2 shown]
	v_fma_mix_f32 v22, v31, v29, v22 op_sel_hi:[0,1,0]
	v_mov_b32_e32 v31, 0
	v_dot4c_i32_i8 v31, v23, v52
	v_cvt_f32_i32_e32 v23, v31
	v_fma_f32 v23, v10, v23, -v11
	v_fma_mix_f32 v22, v23, v29, v22 op_sel_hi:[0,1,0]
	v_lshrrev_b32_e32 v23, 4, v30
	v_mov_b32_e32 v30, 0
	v_and_b32_e32 v23, 0xf0f0f0f, v23
	v_dot4c_i32_i8 v30, v23, v53
	v_cvt_f32_i32_e32 v23, v30
	v_mov_b32_e32 v30, 0
	v_fma_f32 v23, v10, v23, -v11
	v_fma_mix_f32 v22, v23, v29, v22 op_sel_hi:[0,1,0]
	global_load_dword v23, v[20:21], off offset:92
	s_waitcnt vmcnt(0)
	v_and_b32_e32 v29, 0xf0f0f0f, v23
	v_lshrrev_b32_e32 v23, 4, v23
	v_dot4c_i32_i8 v30, v29, v54
	global_load_ushort v29, v[18:19], off offset:90
	v_and_b32_e32 v23, 0xf0f0f0f, v23
	v_cvt_f32_i32_e32 v30, v30
	v_fma_f32 v30, v12, v30, -v13
	s_waitcnt vmcnt(0)
	v_fma_mix_f32 v22, v30, v29, v22 op_sel_hi:[0,1,0]
	global_load_dword v30, v[20:21], off offset:100
	s_waitcnt vmcnt(0)
	v_and_b32_e32 v31, 0xf0f0f0f, v30
	v_dot4c_i32_i8 v32, v31, v55
	v_cvt_f32_i32_e32 v31, v32
	v_fma_f32 v31, v12, v31, -v13
	v_fma_mix_f32 v22, v31, v29, v22 op_sel_hi:[0,1,0]
	v_mov_b32_e32 v31, 0
	v_dot4c_i32_i8 v31, v23, v56
	v_lshrrev_b32_e32 v23, 4, v30
	v_mov_b32_e32 v30, 0
	v_and_b32_e32 v23, 0xf0f0f0f, v23
	v_dot4c_i32_i8 v30, v23, v57
	v_cvt_f32_i32_e32 v23, v31
	v_cvt_f32_i32_e32 v30, v30
	v_fma_f32 v23, v12, v23, -v13
	v_fma_f32 v30, v12, v30, -v13
	v_fma_mix_f32 v22, v23, v29, v22 op_sel_hi:[0,1,0]
	global_load_dword v23, v[20:21], off offset:110
	v_fma_mix_f32 v22, v30, v29, v22 op_sel_hi:[0,1,0]
	v_mov_b32_e32 v30, 0
	s_waitcnt vmcnt(0)
	v_and_b32_e32 v29, 0xf0f0f0f, v23
	v_lshrrev_b32_e32 v23, 4, v23
	v_dot4c_i32_i8 v30, v29, v58
	s_clause 0x1
	global_load_ushort v29, v[18:19], off offset:108
	global_load_dword v31, v[20:21], off offset:118
	v_and_b32_e32 v23, 0xf0f0f0f, v23
	v_cvt_f32_i32_e32 v30, v30
	v_fma_f32 v30, v14, v30, -v15
	s_waitcnt vmcnt(1)
	v_fma_mix_f32 v22, v30, v29, v22 op_sel_hi:[0,1,0]
	s_waitcnt vmcnt(0)
	v_and_b32_e32 v32, 0xf0f0f0f, v31
	v_mov_b32_e32 v30, 0
	v_dot4c_i32_i8 v33, v32, v59
	v_dot4c_i32_i8 v30, v23, v60
	v_lshrrev_b32_e32 v23, 4, v31
	v_mov_b32_e32 v31, 0
	v_cvt_f32_i32_e32 v32, v33
	v_and_b32_e32 v23, 0xf0f0f0f, v23
	v_fma_f32 v32, v14, v32, -v15
	v_dot4c_i32_i8 v31, v23, v61
	v_cvt_f32_i32_e32 v23, v30
	v_fma_mix_f32 v22, v32, v29, v22 op_sel_hi:[0,1,0]
	v_cvt_f32_i32_e32 v30, v31
	v_fma_f32 v23, v14, v23, -v15
	v_fma_f32 v30, v14, v30, -v15
	v_fma_mix_f32 v22, v23, v29, v22 op_sel_hi:[0,1,0]
	s_clause 0x2
	global_load_dword v23, v[20:21], off offset:128
	global_load_ushort v18, v[18:19], off offset:126
	global_load_dword v19, v[20:21], off offset:136
	v_mov_b32_e32 v21, 0
	v_fma_mix_f32 v22, v30, v29, v22 op_sel_hi:[0,1,0]
	v_mov_b32_e32 v30, 0
	s_waitcnt vmcnt(2)
	v_and_b32_e32 v29, 0xf0f0f0f, v23
	s_waitcnt vmcnt(0)
	v_and_b32_e32 v20, 0xf0f0f0f, v19
	v_lshrrev_b32_e32 v19, 4, v19
	v_dot4c_i32_i8 v30, v29, v62
	v_dot4c_i32_i8 v21, v20, v63
	v_and_b32_e32 v19, 0xf0f0f0f, v19
	v_cvt_f32_i32_e32 v20, v30
	v_cvt_f32_i32_e32 v21, v21
	v_fma_f32 v20, v16, v20, -v17
	v_fma_f32 v21, v16, v21, -v17
	v_fma_mix_f32 v20, v20, v18, v22 op_sel_hi:[0,1,0]
	v_mov_b32_e32 v22, 0
	v_fma_mix_f32 v20, v21, v18, v20 op_sel_hi:[0,1,0]
	v_lshrrev_b32_e32 v21, 4, v23
	v_and_b32_e32 v21, 0xf0f0f0f, v21
	v_dot4c_i32_i8 v22, v21, v64
	v_mov_b32_e32 v21, 0
	v_dot4c_i32_i8 v21, v19, v65
	v_cvt_f32_i32_e32 v19, v22
	v_cvt_f32_i32_e32 v21, v21
	v_fma_f32 v19, v16, v19, -v17
	v_fma_f32 v21, v16, v21, -v17
	v_fma_mix_f32 v19, v19, v18, v20 op_sel_hi:[0,1,0]
	v_fma_mix_f32 v18, v21, v18, v19 op_sel_hi:[0,1,0]
	ds_bpermute_b32 v19, v102, v18
	s_waitcnt lgkmcnt(0)
	v_add_f32_e32 v18, v18, v19
                                        ; implicit-def: $vgpr19
	v_cmp_ngt_f32_e64 s9, 0x3f200000, |v18|
	s_and_saveexec_b32 s26, s9
	s_xor_b32 s9, exec_lo, s26
	s_cbranch_execz .LBB27_17
; %bb.16:                               ;   in Loop: Header=BB27_15 Depth=1
	v_add_f32_e64 v19, |v18|, |v18|
	v_mul_f32_e32 v20, 0x3fb8aa3b, v19
	v_cmp_ngt_f32_e32 vcc_lo, 0xc2ce8ed0, v19
	v_rndne_f32_e32 v21, v20
	v_fma_f32 v22, 0x3fb8aa3b, v19, -v20
	v_sub_f32_e32 v20, v20, v21
	v_fmac_f32_e32 v22, 0x32a5705f, v19
	v_cvt_i32_f32_e32 v21, v21
	v_add_f32_e32 v20, v20, v22
	v_exp_f32_e32 v20, v20
	v_ldexp_f32 v20, v20, v21
	v_cndmask_b32_e32 v20, 0, v20, vcc_lo
	v_cmp_nlt_f32_e32 vcc_lo, 0x42b17218, v19
	v_cndmask_b32_e32 v19, 0x7f800000, v20, vcc_lo
	v_add_f32_e32 v19, 1.0, v19
	v_rcp_f32_e32 v19, v19
	v_fma_f32 v19, v19, -2.0, 1.0
.LBB27_17:                              ;   in Loop: Header=BB27_15 Depth=1
	s_andn2_saveexec_b32 s9, s9
	s_cbranch_execz .LBB27_19
; %bb.18:                               ;   in Loop: Header=BB27_15 Depth=1
	v_mul_f32_e32 v19, v18, v18
	v_fmaak_f32 v20, s35, v19, 0x3ca908c9
	v_fmaak_f32 v20, v19, v20, 0xbd5c1c4e
	;; [unrolled: 1-line block ×4, first 2 shown]
	v_mul_f32_e64 v20, |v18|, v20
	v_fma_f32 v19, v19, v20, |v18|
.LBB27_19:                              ;   in Loop: Header=BB27_15 Depth=1
	s_or_b32 exec_lo, exec_lo, s9
	v_bfi_b32 v20, 0x7fffffff, v19, v18
	v_add_co_u32 v18, s9, s3, v92
	v_add_co_ci_u32_e64 v19, null, s12, 0, s9
	v_mul_f32_e32 v29, s37, v20
	s_andn2_b32 vcc_lo, exec_lo, s14
	s_cbranch_vccnz .LBB27_21
; %bb.20:                               ;   in Loop: Header=BB27_15 Depth=1
	global_load_ushort v20, v[18:19], off
	s_waitcnt vmcnt(0)
	v_fma_mix_f32 v29, v67, v20, v29 op_sel_hi:[0,1,0]
.LBB27_21:                              ;   in Loop: Header=BB27_15 Depth=1
	v_ashrrev_i32_e32 v20, 31, v107
	v_add_co_u32 v22, vcc_lo, s24, v107
	v_mov_b32_e32 v32, 0
	v_mov_b32_e32 v145, 0
	v_add_co_ci_u32_e64 v23, null, s25, v20, vcc_lo
	v_add_co_u32 v20, vcc_lo, v22, v71
	v_mov_b32_e32 v146, 0
	v_add_co_ci_u32_e64 v21, null, 0, v23, vcc_lo
	s_clause 0x1
	global_load_dword v30, v[20:21], off offset:2
	global_load_dword v33, v[20:21], off offset:10
	s_waitcnt vmcnt(1)
	v_and_b32_e32 v31, 0xf0f0f0f, v30
	s_waitcnt vmcnt(0)
	v_and_b32_e32 v144, 0xf0f0f0f, v33
	v_lshrrev_b32_e32 v30, 4, v30
	v_dot4c_i32_i8 v32, v31, v34
	global_load_ushort v31, v[22:23], off
	v_dot4c_i32_i8 v145, v144, v35
	v_and_b32_e32 v30, 0xf0f0f0f, v30
	v_cvt_f32_i32_e32 v32, v32
	v_cvt_f32_i32_e32 v144, v145
	v_mov_b32_e32 v145, 0
	v_fma_f32 v32, v2, v32, -v3
	v_fma_f32 v144, v2, v144, -v3
	s_waitcnt vmcnt(0)
	v_fma_mix_f32 v32, v32, v31, 0 op_sel_hi:[0,1,0]
	v_fma_mix_f32 v32, v144, v31, v32 op_sel_hi:[0,1,0]
	v_mov_b32_e32 v144, 0
	v_dot4c_i32_i8 v144, v30, v36
	v_cvt_f32_i32_e32 v30, v144
	v_fma_f32 v30, v2, v30, -v3
	v_fma_mix_f32 v30, v30, v31, v32 op_sel_hi:[0,1,0]
	v_lshrrev_b32_e32 v32, 4, v33
	v_mov_b32_e32 v33, 0
	v_and_b32_e32 v32, 0xf0f0f0f, v32
	v_dot4c_i32_i8 v33, v32, v37
	v_cvt_f32_i32_e32 v32, v33
	v_mov_b32_e32 v33, 0
	v_fma_f32 v32, v2, v32, -v3
	v_fma_mix_f32 v30, v32, v31, v30 op_sel_hi:[0,1,0]
	global_load_dword v31, v[20:21], off offset:20
	s_waitcnt vmcnt(0)
	v_and_b32_e32 v32, 0xf0f0f0f, v31
	v_lshrrev_b32_e32 v31, 4, v31
	v_dot4c_i32_i8 v33, v32, v38
	global_load_ushort v32, v[22:23], off offset:18
	v_and_b32_e32 v31, 0xf0f0f0f, v31
	v_cvt_f32_i32_e32 v33, v33
	v_fma_f32 v33, v4, v33, -v5
	s_waitcnt vmcnt(0)
	v_fma_mix_f32 v30, v33, v32, v30 op_sel_hi:[0,1,0]
	global_load_dword v33, v[20:21], off offset:28
	s_waitcnt vmcnt(0)
	v_and_b32_e32 v144, 0xf0f0f0f, v33
	v_dot4c_i32_i8 v145, v144, v39
	v_cvt_f32_i32_e32 v144, v145
	v_mov_b32_e32 v145, 0
	v_fma_f32 v144, v4, v144, -v5
	v_fma_mix_f32 v30, v144, v32, v30 op_sel_hi:[0,1,0]
	v_mov_b32_e32 v144, 0
	v_dot4c_i32_i8 v144, v31, v40
	v_cvt_f32_i32_e32 v31, v144
	v_fma_f32 v31, v4, v31, -v5
	v_fma_mix_f32 v30, v31, v32, v30 op_sel_hi:[0,1,0]
	v_lshrrev_b32_e32 v31, 4, v33
	v_mov_b32_e32 v33, 0
	v_and_b32_e32 v31, 0xf0f0f0f, v31
	v_dot4c_i32_i8 v33, v31, v41
	v_cvt_f32_i32_e32 v31, v33
	v_mov_b32_e32 v33, 0
	v_fma_f32 v31, v4, v31, -v5
	v_fma_mix_f32 v30, v31, v32, v30 op_sel_hi:[0,1,0]
	global_load_dword v31, v[20:21], off offset:38
	s_waitcnt vmcnt(0)
	v_and_b32_e32 v32, 0xf0f0f0f, v31
	v_lshrrev_b32_e32 v31, 4, v31
	v_dot4c_i32_i8 v33, v32, v42
	global_load_ushort v32, v[22:23], off offset:36
	v_and_b32_e32 v31, 0xf0f0f0f, v31
	v_cvt_f32_i32_e32 v33, v33
	v_fma_f32 v33, v6, v33, -v7
	s_waitcnt vmcnt(0)
	v_fma_mix_f32 v30, v33, v32, v30 op_sel_hi:[0,1,0]
	global_load_dword v33, v[20:21], off offset:46
	s_waitcnt vmcnt(0)
	v_and_b32_e32 v144, 0xf0f0f0f, v33
	v_dot4c_i32_i8 v145, v144, v43
	v_cvt_f32_i32_e32 v144, v145
	v_mov_b32_e32 v145, 0
	v_fma_f32 v144, v6, v144, -v7
	;; [unrolled: 32-line block ×4, first 2 shown]
	v_fma_mix_f32 v30, v144, v32, v30 op_sel_hi:[0,1,0]
	v_mov_b32_e32 v144, 0
	v_dot4c_i32_i8 v144, v31, v52
	v_cvt_f32_i32_e32 v31, v144
	v_fma_f32 v31, v10, v31, -v11
	v_fma_mix_f32 v30, v31, v32, v30 op_sel_hi:[0,1,0]
	v_lshrrev_b32_e32 v31, 4, v33
	v_mov_b32_e32 v33, 0
	v_and_b32_e32 v31, 0xf0f0f0f, v31
	v_dot4c_i32_i8 v33, v31, v53
	v_cvt_f32_i32_e32 v31, v33
	v_mov_b32_e32 v33, 0
	v_fma_f32 v31, v10, v31, -v11
	v_fma_mix_f32 v30, v31, v32, v30 op_sel_hi:[0,1,0]
	global_load_dword v31, v[20:21], off offset:92
	s_waitcnt vmcnt(0)
	v_and_b32_e32 v32, 0xf0f0f0f, v31
	v_lshrrev_b32_e32 v31, 4, v31
	v_dot4c_i32_i8 v33, v32, v54
	global_load_ushort v32, v[22:23], off offset:90
	v_and_b32_e32 v31, 0xf0f0f0f, v31
	v_cvt_f32_i32_e32 v33, v33
	v_fma_f32 v33, v12, v33, -v13
	s_waitcnt vmcnt(0)
	v_fma_mix_f32 v30, v33, v32, v30 op_sel_hi:[0,1,0]
	global_load_dword v33, v[20:21], off offset:100
	s_waitcnt vmcnt(0)
	v_and_b32_e32 v144, 0xf0f0f0f, v33
	v_dot4c_i32_i8 v145, v144, v55
	v_cvt_f32_i32_e32 v144, v145
	v_fma_f32 v144, v12, v144, -v13
	v_fma_mix_f32 v30, v144, v32, v30 op_sel_hi:[0,1,0]
	v_mov_b32_e32 v144, 0
	v_dot4c_i32_i8 v144, v31, v56
	v_lshrrev_b32_e32 v31, 4, v33
	v_mov_b32_e32 v33, 0
	v_and_b32_e32 v31, 0xf0f0f0f, v31
	v_dot4c_i32_i8 v33, v31, v57
	v_cvt_f32_i32_e32 v31, v144
	v_cvt_f32_i32_e32 v33, v33
	v_fma_f32 v31, v12, v31, -v13
	v_fma_f32 v33, v12, v33, -v13
	v_fma_mix_f32 v30, v31, v32, v30 op_sel_hi:[0,1,0]
	global_load_dword v31, v[20:21], off offset:110
	v_fma_mix_f32 v30, v33, v32, v30 op_sel_hi:[0,1,0]
	v_mov_b32_e32 v33, 0
	s_waitcnt vmcnt(0)
	v_and_b32_e32 v32, 0xf0f0f0f, v31
	v_lshrrev_b32_e32 v31, 4, v31
	v_dot4c_i32_i8 v33, v32, v58
	s_clause 0x1
	global_load_ushort v32, v[22:23], off offset:108
	global_load_dword v144, v[20:21], off offset:118
	v_and_b32_e32 v31, 0xf0f0f0f, v31
	v_cvt_f32_i32_e32 v33, v33
	v_fma_f32 v33, v14, v33, -v15
	s_waitcnt vmcnt(1)
	v_fma_mix_f32 v30, v33, v32, v30 op_sel_hi:[0,1,0]
	s_waitcnt vmcnt(0)
	v_and_b32_e32 v145, 0xf0f0f0f, v144
	v_mov_b32_e32 v33, 0
	v_dot4c_i32_i8 v146, v145, v59
	v_dot4c_i32_i8 v33, v31, v60
	v_lshrrev_b32_e32 v31, 4, v144
	v_mov_b32_e32 v144, 0
	v_cvt_f32_i32_e32 v145, v146
	v_and_b32_e32 v31, 0xf0f0f0f, v31
	v_fma_f32 v145, v14, v145, -v15
	v_dot4c_i32_i8 v144, v31, v61
	v_cvt_f32_i32_e32 v31, v33
	v_fma_mix_f32 v30, v145, v32, v30 op_sel_hi:[0,1,0]
	v_cvt_f32_i32_e32 v33, v144
	v_fma_f32 v31, v14, v31, -v15
	v_fma_f32 v33, v14, v33, -v15
	v_fma_mix_f32 v30, v31, v32, v30 op_sel_hi:[0,1,0]
	s_clause 0x2
	global_load_dword v31, v[20:21], off offset:128
	global_load_ushort v22, v[22:23], off offset:126
	global_load_dword v20, v[20:21], off offset:136
	v_mov_b32_e32 v23, 0
	v_fma_mix_f32 v30, v33, v32, v30 op_sel_hi:[0,1,0]
	v_mov_b32_e32 v33, 0
	s_waitcnt vmcnt(2)
	v_and_b32_e32 v32, 0xf0f0f0f, v31
	s_waitcnt vmcnt(0)
	v_and_b32_e32 v21, 0xf0f0f0f, v20
	v_lshrrev_b32_e32 v20, 4, v20
	v_dot4c_i32_i8 v33, v32, v62
	v_dot4c_i32_i8 v23, v21, v63
	v_and_b32_e32 v20, 0xf0f0f0f, v20
	v_cvt_f32_i32_e32 v21, v33
	v_cvt_f32_i32_e32 v23, v23
	v_fma_f32 v21, v16, v21, -v17
	v_fma_f32 v23, v16, v23, -v17
	v_fma_mix_f32 v21, v21, v22, v30 op_sel_hi:[0,1,0]
	v_mov_b32_e32 v30, 0
	v_fma_mix_f32 v21, v23, v22, v21 op_sel_hi:[0,1,0]
	v_lshrrev_b32_e32 v23, 4, v31
	v_and_b32_e32 v23, 0xf0f0f0f, v23
	v_dot4c_i32_i8 v30, v23, v64
	v_mov_b32_e32 v23, 0
	v_dot4c_i32_i8 v23, v20, v65
	v_cvt_f32_i32_e32 v20, v30
	v_cvt_f32_i32_e32 v23, v23
	v_fma_f32 v20, v16, v20, -v17
	v_fma_f32 v23, v16, v23, -v17
	v_fma_mix_f32 v20, v20, v22, v21 op_sel_hi:[0,1,0]
	v_fma_mix_f32 v20, v23, v22, v20 op_sel_hi:[0,1,0]
	ds_bpermute_b32 v21, v102, v20
	s_waitcnt lgkmcnt(0)
	v_add_f32_e32 v20, v20, v21
                                        ; implicit-def: $vgpr21
	v_cmp_ngt_f32_e64 s9, 0x3f200000, |v20|
	s_and_saveexec_b32 s26, s9
	s_xor_b32 s9, exec_lo, s26
	s_cbranch_execz .LBB27_23
; %bb.22:                               ;   in Loop: Header=BB27_15 Depth=1
	v_add_f32_e64 v21, |v20|, |v20|
	v_mul_f32_e32 v22, 0x3fb8aa3b, v21
	v_cmp_ngt_f32_e32 vcc_lo, 0xc2ce8ed0, v21
	v_rndne_f32_e32 v23, v22
	v_fma_f32 v30, 0x3fb8aa3b, v21, -v22
	v_sub_f32_e32 v22, v22, v23
	v_fmac_f32_e32 v30, 0x32a5705f, v21
	v_cvt_i32_f32_e32 v23, v23
	v_add_f32_e32 v22, v22, v30
	v_exp_f32_e32 v22, v22
	v_ldexp_f32 v22, v22, v23
	v_cndmask_b32_e32 v22, 0, v22, vcc_lo
	v_cmp_nlt_f32_e32 vcc_lo, 0x42b17218, v21
	v_cndmask_b32_e32 v21, 0x7f800000, v22, vcc_lo
	v_add_f32_e32 v21, 1.0, v21
	v_rcp_f32_e32 v21, v21
	v_fma_f32 v21, v21, -2.0, 1.0
.LBB27_23:                              ;   in Loop: Header=BB27_15 Depth=1
	s_andn2_saveexec_b32 s9, s9
	s_cbranch_execz .LBB27_25
; %bb.24:                               ;   in Loop: Header=BB27_15 Depth=1
	v_mul_f32_e32 v21, v20, v20
	v_fmaak_f32 v22, s35, v21, 0x3ca908c9
	v_fmaak_f32 v22, v21, v22, 0xbd5c1c4e
	;; [unrolled: 1-line block ×4, first 2 shown]
	v_mul_f32_e64 v22, |v20|, v22
	v_fma_f32 v21, v21, v22, |v20|
.LBB27_25:                              ;   in Loop: Header=BB27_15 Depth=1
	s_or_b32 exec_lo, exec_lo, s9
	v_bfi_b32 v20, 0x7fffffff, v21, v20
	s_andn2_b32 vcc_lo, exec_lo, s14
	v_mul_f32_e32 v20, s37, v20
	s_cbranch_vccnz .LBB27_27
; %bb.26:                               ;   in Loop: Header=BB27_15 Depth=1
	global_load_ushort v18, v[18:19], off offset:2
	s_waitcnt vmcnt(0)
	v_fma_mix_f32 v20, v67, v18, v20 op_sel_hi:[0,1,0]
.LBB27_27:                              ;   in Loop: Header=BB27_15 Depth=1
	v_add_f32_e32 v18, 0x40051340, v29
	v_add_f32_e32 v19, 0x40051340, v20
	v_ashrrev_i32_e32 v145, 31, v72
	v_mul_u32_u24_e32 v147, 34, v75
	s_add_i32 s2, s8, s2
	s_add_u32 s24, s24, s15
	v_max3_f32 v18, v28, v18, v19
	s_addc_u32 s25, s25, 0
	ds_bpermute_b32 v19, v87, v18
	s_waitcnt lgkmcnt(0)
	v_max_f32_e32 v19, v19, v19
	v_max_f32_e32 v18, v18, v19
	ds_bpermute_b32 v19, v89, v18
	s_waitcnt lgkmcnt(0)
	v_max_f32_e32 v19, v19, v19
	v_max_f32_e32 v18, v18, v19
	;; [unrolled: 4-line block ×4, first 2 shown]
	v_cndmask_b32_e64 v18, v20, v29, s1
	v_sub_f32_e32 v19, v28, v144
	v_sub_f32_e32 v18, v18, v144
	v_mul_f32_e32 v20, 0x3fb8aa3b, v19
	v_cmp_ngt_f32_e32 vcc_lo, 0xc2ce8ed0, v19
	v_fma_f32 v21, 0x3fb8aa3b, v19, -v20
	v_rndne_f32_e32 v22, v20
	v_fmac_f32_e32 v21, 0x32a5705f, v19
	v_sub_f32_e32 v20, v20, v22
	v_add_f32_e32 v20, v20, v21
	v_cvt_i32_f32_e32 v21, v22
	v_exp_f32_e32 v20, v20
	v_ldexp_f32 v20, v20, v21
	v_cndmask_b32_e32 v20, 0, v20, vcc_lo
	v_cmp_nlt_f32_e32 vcc_lo, 0x42b17218, v19
	v_cndmask_b32_e32 v19, 0x7f800000, v20, vcc_lo
	v_mul_f32_e32 v20, 0x3fb8aa3b, v18
	v_cmp_ngt_f32_e32 vcc_lo, 0xc2ce8ed0, v18
	v_fma_f32 v21, 0x3fb8aa3b, v18, -v20
	v_rndne_f32_e32 v22, v20
	v_fmac_f32_e32 v21, 0x32a5705f, v18
	v_sub_f32_e32 v20, v20, v22
	v_add_f32_e32 v20, v20, v21
	v_cvt_i32_f32_e32 v21, v22
	v_exp_f32_e32 v20, v20
	v_ldexp_f32 v20, v20, v21
	v_cndmask_b32_e32 v20, 0, v20, vcc_lo
	v_cmp_nlt_f32_e32 vcc_lo, 0x42b17218, v18
	v_cndmask_b32_e32 v18, 0x7f800000, v20, vcc_lo
	v_add_co_u32 v156, vcc_lo, s13, v72
	v_add_co_ci_u32_e64 v157, null, s19, v145, vcc_lo
	v_mul_hi_u32_u24_e32 v145, 34, v75
	v_add_co_u32 v148, vcc_lo, v156, v147
	v_fma_f32 v76, v76, v19, v18
	v_cvt_f16_f32_e32 v19, v19
	v_add_co_ci_u32_e64 v149, null, v157, v145, vcc_lo
	v_add_co_u32 v150, vcc_lo, v148, v78
	v_cvt_f16_f32_e32 v18, v18
	v_mul_u32_u24_sdwa v19, v19, v80 dst_sel:DWORD dst_unused:UNUSED_PAD src0_sel:WORD_0 src1_sel:DWORD
	v_add_co_ci_u32_e64 v151, null, 0, v149, vcc_lo
	ds_write_b16 v69, v18
	v_pk_mul_f16 v146, v25, v19
	v_pk_mul_f16 v152, v24, v19
	;; [unrolled: 1-line block ×4, first 2 shown]
	ds_read_b128 v[30:33], v74
	ds_read_b128 v[26:29], v74 offset:16
	ds_read_b128 v[22:25], v74 offset:32
	;; [unrolled: 1-line block ×3, first 2 shown]
	s_clause 0x1
	global_load_ushort v148, v[148:149], off
	global_load_dword v149, v[150:151], off offset:2
	s_waitcnt lgkmcnt(3)
	v_mul_u32_u24_sdwa v155, v30, v80 dst_sel:DWORD dst_unused:UNUSED_PAD src0_sel:WORD_0 src1_sel:DWORD
	v_mul_u32_u24_sdwa v30, v30, v80 dst_sel:DWORD dst_unused:UNUSED_PAD src0_sel:WORD_1 src1_sel:DWORD
	s_waitcnt vmcnt(1)
	v_mul_u32_u24_e32 v148, 0x10001, v148
	s_waitcnt vmcnt(0)
	v_pk_lshrrev_b16 v150, 8, v149 op_sel:[1,0] op_sel_hi:[0,0]
	v_pk_lshrrev_b16 v149, 8, v149 op_sel:[1,1] op_sel_hi:[0,1]
	v_lshrrev_b32_e32 v151, 16, v150
	v_cvt_f16_i16_sdwa v150, sext(v150) dst_sel:DWORD dst_unused:UNUSED_PAD src0_sel:BYTE_0
	v_cvt_f16_i16_sdwa v151, sext(v151) dst_sel:DWORD dst_unused:UNUSED_PAD src0_sel:BYTE_0
	v_pack_b32_f16 v150, v150, v151
	v_lshrrev_b32_e32 v151, 16, v149
	v_cvt_f16_i16_sdwa v149, sext(v149) dst_sel:DWORD dst_unused:UNUSED_PAD src0_sel:BYTE_0
	v_pk_mul_f16 v150, v150, v148
	v_cvt_f16_i16_sdwa v151, sext(v151) dst_sel:DWORD dst_unused:UNUSED_PAD src0_sel:BYTE_0
	v_pk_fma_f16 v158, v150, v155, v146
	v_pack_b32_f16 v149, v149, v151
	v_mul_hi_u32_u24_e32 v146, 34, v84
	v_pk_mul_f16 v148, v149, v148
	v_pk_fma_f16 v159, v148, v155, v152
	v_mul_u32_u24_e32 v148, 34, v84
	v_add_co_u32 v149, vcc_lo, v156, v148
	v_add_co_ci_u32_e64 v150, null, v157, v146, vcc_lo
	v_add_co_u32 v151, vcc_lo, v149, v86
	v_add_co_ci_u32_e64 v152, null, 0, v150, vcc_lo
	s_clause 0x1
	global_load_ushort v149, v[149:150], off
	global_load_dword v150, v[151:152], off offset:2
	s_waitcnt vmcnt(1)
	v_mul_u32_u24_e32 v149, 0x10001, v149
	s_waitcnt vmcnt(0)
	v_pk_lshrrev_b16 v151, 8, v150 op_sel:[1,0] op_sel_hi:[0,0]
	v_pk_lshrrev_b16 v150, 8, v150 op_sel:[1,1] op_sel_hi:[0,1]
	v_lshrrev_b32_e32 v152, 16, v151
	v_cvt_f16_i16_sdwa v151, sext(v151) dst_sel:DWORD dst_unused:UNUSED_PAD src0_sel:BYTE_0
	v_cvt_f16_i16_sdwa v152, sext(v152) dst_sel:DWORD dst_unused:UNUSED_PAD src0_sel:BYTE_0
	v_pack_b32_f16 v151, v151, v152
	v_lshrrev_b32_e32 v152, 16, v150
	v_cvt_f16_i16_sdwa v150, sext(v150) dst_sel:DWORD dst_unused:UNUSED_PAD src0_sel:BYTE_0
	v_pk_mul_f16 v151, v151, v149
	v_cvt_f16_i16_sdwa v152, sext(v152) dst_sel:DWORD dst_unused:UNUSED_PAD src0_sel:BYTE_0
	v_pk_fma_f16 v153, v151, v155, v153
	v_pack_b32_f16 v150, v150, v152
	v_pk_mul_f16 v149, v150, v149
	v_pk_fma_f16 v154, v149, v155, v154
	v_ashrrev_i32_e32 v149, 31, v73
	v_add_co_u32 v155, vcc_lo, s13, v73
	v_add_co_ci_u32_e64 v156, null, s19, v149, vcc_lo
	v_add_co_u32 v149, vcc_lo, v155, v147
	v_add_co_ci_u32_e64 v150, null, v156, v145, vcc_lo
	;; [unrolled: 2-line block ×3, first 2 shown]
	s_clause 0x1
	global_load_ushort v149, v[149:150], off
	global_load_dword v150, v[151:152], off offset:2
	s_waitcnt vmcnt(1)
	v_mul_u32_u24_e32 v149, 0x10001, v149
	s_waitcnt vmcnt(0)
	v_pk_lshrrev_b16 v151, 8, v150 op_sel:[1,0] op_sel_hi:[0,0]
	v_pk_lshrrev_b16 v150, 8, v150 op_sel:[1,1] op_sel_hi:[0,1]
	v_lshrrev_b32_e32 v152, 16, v151
	v_cvt_f16_i16_sdwa v151, sext(v151) dst_sel:DWORD dst_unused:UNUSED_PAD src0_sel:BYTE_0
	v_cvt_f16_i16_sdwa v152, sext(v152) dst_sel:DWORD dst_unused:UNUSED_PAD src0_sel:BYTE_0
	v_pack_b32_f16 v151, v151, v152
	v_lshrrev_b32_e32 v152, 16, v150
	v_cvt_f16_i16_sdwa v150, sext(v150) dst_sel:DWORD dst_unused:UNUSED_PAD src0_sel:BYTE_0
	v_pk_mul_f16 v151, v151, v149
	v_cvt_f16_i16_sdwa v152, sext(v152) dst_sel:DWORD dst_unused:UNUSED_PAD src0_sel:BYTE_0
	v_pk_fma_f16 v157, v151, v30, v158
	v_pack_b32_f16 v150, v150, v152
	v_pk_mul_f16 v149, v150, v149
	v_pk_fma_f16 v158, v149, v30, v159
	v_add_co_u32 v149, vcc_lo, v155, v148
	v_add_co_ci_u32_e64 v150, null, v156, v146, vcc_lo
	v_add_co_u32 v151, vcc_lo, v149, v86
	v_add_co_ci_u32_e64 v152, null, 0, v150, vcc_lo
	global_load_ushort v149, v[149:150], off
	v_add_co_u32 v155, vcc_lo, s13, v77
	global_load_dword v150, v[151:152], off offset:2
	s_waitcnt vmcnt(1)
	v_mul_u32_u24_e32 v149, 0x10001, v149
	s_waitcnt vmcnt(0)
	v_pk_lshrrev_b16 v151, 8, v150 op_sel:[1,0] op_sel_hi:[0,0]
	v_pk_lshrrev_b16 v150, 8, v150 op_sel:[1,1] op_sel_hi:[0,1]
	v_lshrrev_b32_e32 v152, 16, v151
	v_cvt_f16_i16_sdwa v151, sext(v151) dst_sel:DWORD dst_unused:UNUSED_PAD src0_sel:BYTE_0
	v_cvt_f16_i16_sdwa v152, sext(v152) dst_sel:DWORD dst_unused:UNUSED_PAD src0_sel:BYTE_0
	v_pack_b32_f16 v151, v151, v152
	v_lshrrev_b32_e32 v152, 16, v150
	v_cvt_f16_i16_sdwa v150, sext(v150) dst_sel:DWORD dst_unused:UNUSED_PAD src0_sel:BYTE_0
	v_pk_mul_f16 v151, v151, v149
	v_cvt_f16_i16_sdwa v152, sext(v152) dst_sel:DWORD dst_unused:UNUSED_PAD src0_sel:BYTE_0
	v_pk_fma_f16 v153, v151, v30, v153
	v_pack_b32_f16 v150, v150, v152
	v_pk_mul_f16 v149, v150, v149
	v_pk_fma_f16 v30, v149, v30, v154
	v_ashrrev_i32_e32 v149, 31, v77
	v_mul_u32_u24_sdwa v154, v31, v80 dst_sel:DWORD dst_unused:UNUSED_PAD src0_sel:WORD_0 src1_sel:DWORD
	v_add_co_ci_u32_e64 v156, null, s19, v149, vcc_lo
	v_add_co_u32 v149, vcc_lo, v155, v147
	v_add_co_ci_u32_e64 v150, null, v156, v145, vcc_lo
	v_add_co_u32 v151, vcc_lo, v149, v78
	v_add_co_ci_u32_e64 v152, null, 0, v150, vcc_lo
	s_clause 0x1
	global_load_ushort v149, v[149:150], off
	global_load_dword v150, v[151:152], off offset:2
	s_waitcnt vmcnt(1)
	v_mul_u32_u24_e32 v149, 0x10001, v149
	s_waitcnt vmcnt(0)
	v_pk_lshrrev_b16 v151, 8, v150 op_sel:[1,0] op_sel_hi:[0,0]
	v_pk_lshrrev_b16 v150, 8, v150 op_sel:[1,1] op_sel_hi:[0,1]
	v_lshrrev_b32_e32 v152, 16, v151
	v_cvt_f16_i16_sdwa v151, sext(v151) dst_sel:DWORD dst_unused:UNUSED_PAD src0_sel:BYTE_0
	v_cvt_f16_i16_sdwa v152, sext(v152) dst_sel:DWORD dst_unused:UNUSED_PAD src0_sel:BYTE_0
	v_pack_b32_f16 v151, v151, v152
	v_lshrrev_b32_e32 v152, 16, v150
	v_cvt_f16_i16_sdwa v150, sext(v150) dst_sel:DWORD dst_unused:UNUSED_PAD src0_sel:BYTE_0
	v_pk_mul_f16 v151, v151, v149
	v_cvt_f16_i16_sdwa v152, sext(v152) dst_sel:DWORD dst_unused:UNUSED_PAD src0_sel:BYTE_0
	v_pk_fma_f16 v157, v151, v154, v157
	v_pack_b32_f16 v150, v150, v152
	v_pk_mul_f16 v149, v150, v149
	v_pk_fma_f16 v158, v149, v154, v158
	v_add_co_u32 v149, vcc_lo, v155, v148
	v_add_co_ci_u32_e64 v150, null, v156, v146, vcc_lo
	v_add_co_u32 v151, vcc_lo, v149, v86
	v_add_co_ci_u32_e64 v152, null, 0, v150, vcc_lo
	s_clause 0x1
	global_load_ushort v149, v[149:150], off
	global_load_dword v150, v[151:152], off offset:2
	s_waitcnt vmcnt(1)
	v_mul_u32_u24_e32 v149, 0x10001, v149
	s_waitcnt vmcnt(0)
	v_pk_lshrrev_b16 v151, 8, v150 op_sel:[1,0] op_sel_hi:[0,0]
	v_pk_lshrrev_b16 v150, 8, v150 op_sel:[1,1] op_sel_hi:[0,1]
	v_lshrrev_b32_e32 v152, 16, v151
	v_cvt_f16_i16_sdwa v151, sext(v151) dst_sel:DWORD dst_unused:UNUSED_PAD src0_sel:BYTE_0
	v_cvt_f16_i16_sdwa v152, sext(v152) dst_sel:DWORD dst_unused:UNUSED_PAD src0_sel:BYTE_0
	v_pack_b32_f16 v151, v151, v152
	v_lshrrev_b32_e32 v152, 16, v150
	v_cvt_f16_i16_sdwa v150, sext(v150) dst_sel:DWORD dst_unused:UNUSED_PAD src0_sel:BYTE_0
	v_pk_mul_f16 v151, v151, v149
	v_cvt_f16_i16_sdwa v152, sext(v152) dst_sel:DWORD dst_unused:UNUSED_PAD src0_sel:BYTE_0
	v_pk_fma_f16 v151, v151, v154, v153
	v_pack_b32_f16 v150, v150, v152
	v_mul_u32_u24_sdwa v153, v31, v80 dst_sel:DWORD dst_unused:UNUSED_PAD src0_sel:WORD_1 src1_sel:DWORD
	v_pk_mul_f16 v149, v150, v149
	v_pk_fma_f16 v152, v149, v154, v30
	v_ashrrev_i32_e32 v30, 31, v79
	v_add_co_u32 v154, vcc_lo, s13, v79
	v_add_co_ci_u32_e64 v155, null, s19, v30, vcc_lo
	v_add_co_u32 v30, vcc_lo, v154, v147
	v_add_co_ci_u32_e64 v31, null, v155, v145, vcc_lo
	;; [unrolled: 2-line block ×3, first 2 shown]
	s_clause 0x1
	global_load_ushort v30, v[30:31], off
	global_load_dword v31, v[149:150], off offset:2
	s_waitcnt vmcnt(1)
	v_mul_u32_u24_e32 v30, 0x10001, v30
	s_waitcnt vmcnt(0)
	v_pk_lshrrev_b16 v149, 8, v31 op_sel:[1,0] op_sel_hi:[0,0]
	v_pk_lshrrev_b16 v31, 8, v31 op_sel:[1,1] op_sel_hi:[0,1]
	v_lshrrev_b32_e32 v150, 16, v149
	v_cvt_f16_i16_sdwa v149, sext(v149) dst_sel:DWORD dst_unused:UNUSED_PAD src0_sel:BYTE_0
	v_cvt_f16_i16_sdwa v150, sext(v150) dst_sel:DWORD dst_unused:UNUSED_PAD src0_sel:BYTE_0
	v_pack_b32_f16 v149, v149, v150
	v_lshrrev_b32_e32 v150, 16, v31
	v_cvt_f16_i16_sdwa v31, sext(v31) dst_sel:DWORD dst_unused:UNUSED_PAD src0_sel:BYTE_0
	v_pk_mul_f16 v149, v149, v30
	v_cvt_f16_i16_sdwa v150, sext(v150) dst_sel:DWORD dst_unused:UNUSED_PAD src0_sel:BYTE_0
	v_pk_fma_f16 v156, v149, v153, v157
	v_pack_b32_f16 v31, v31, v150
	v_pk_mul_f16 v30, v31, v30
	v_pk_fma_f16 v157, v30, v153, v158
	v_add_co_u32 v30, vcc_lo, v154, v148
	v_add_co_ci_u32_e64 v31, null, v155, v146, vcc_lo
	v_add_co_u32 v149, vcc_lo, v30, v86
	v_add_co_ci_u32_e64 v150, null, 0, v31, vcc_lo
	global_load_ushort v30, v[30:31], off
	v_add_co_u32 v154, vcc_lo, s13, v81
	global_load_dword v31, v[149:150], off offset:2
	s_waitcnt vmcnt(1)
	v_mul_u32_u24_e32 v30, 0x10001, v30
	s_waitcnt vmcnt(0)
	v_pk_lshrrev_b16 v149, 8, v31 op_sel:[1,0] op_sel_hi:[0,0]
	v_pk_lshrrev_b16 v31, 8, v31 op_sel:[1,1] op_sel_hi:[0,1]
	v_lshrrev_b32_e32 v150, 16, v149
	v_cvt_f16_i16_sdwa v149, sext(v149) dst_sel:DWORD dst_unused:UNUSED_PAD src0_sel:BYTE_0
	v_cvt_f16_i16_sdwa v150, sext(v150) dst_sel:DWORD dst_unused:UNUSED_PAD src0_sel:BYTE_0
	v_pack_b32_f16 v149, v149, v150
	v_lshrrev_b32_e32 v150, 16, v31
	v_cvt_f16_i16_sdwa v31, sext(v31) dst_sel:DWORD dst_unused:UNUSED_PAD src0_sel:BYTE_0
	v_pk_mul_f16 v149, v149, v30
	v_cvt_f16_i16_sdwa v150, sext(v150) dst_sel:DWORD dst_unused:UNUSED_PAD src0_sel:BYTE_0
	v_pk_fma_f16 v151, v149, v153, v151
	v_pack_b32_f16 v31, v31, v150
	v_pk_mul_f16 v30, v31, v30
	v_pk_fma_f16 v152, v30, v153, v152
	v_ashrrev_i32_e32 v30, 31, v81
	v_mul_u32_u24_sdwa v153, v32, v80 dst_sel:DWORD dst_unused:UNUSED_PAD src0_sel:WORD_0 src1_sel:DWORD
	v_mul_u32_u24_sdwa v32, v32, v80 dst_sel:DWORD dst_unused:UNUSED_PAD src0_sel:WORD_1 src1_sel:DWORD
	v_add_co_ci_u32_e64 v155, null, s19, v30, vcc_lo
	v_add_co_u32 v30, vcc_lo, v154, v147
	v_add_co_ci_u32_e64 v31, null, v155, v145, vcc_lo
	v_add_co_u32 v149, vcc_lo, v30, v78
	v_add_co_ci_u32_e64 v150, null, 0, v31, vcc_lo
	s_clause 0x1
	global_load_ushort v30, v[30:31], off
	global_load_dword v31, v[149:150], off offset:2
	s_waitcnt vmcnt(1)
	v_mul_u32_u24_e32 v30, 0x10001, v30
	s_waitcnt vmcnt(0)
	v_pk_lshrrev_b16 v149, 8, v31 op_sel:[1,0] op_sel_hi:[0,0]
	v_pk_lshrrev_b16 v31, 8, v31 op_sel:[1,1] op_sel_hi:[0,1]
	v_lshrrev_b32_e32 v150, 16, v149
	v_cvt_f16_i16_sdwa v149, sext(v149) dst_sel:DWORD dst_unused:UNUSED_PAD src0_sel:BYTE_0
	v_cvt_f16_i16_sdwa v150, sext(v150) dst_sel:DWORD dst_unused:UNUSED_PAD src0_sel:BYTE_0
	v_pack_b32_f16 v149, v149, v150
	v_lshrrev_b32_e32 v150, 16, v31
	v_cvt_f16_i16_sdwa v31, sext(v31) dst_sel:DWORD dst_unused:UNUSED_PAD src0_sel:BYTE_0
	v_pk_mul_f16 v149, v149, v30
	v_cvt_f16_i16_sdwa v150, sext(v150) dst_sel:DWORD dst_unused:UNUSED_PAD src0_sel:BYTE_0
	v_pk_fma_f16 v156, v149, v153, v156
	v_pack_b32_f16 v31, v31, v150
	v_pk_mul_f16 v30, v31, v30
	v_pk_fma_f16 v157, v30, v153, v157
	v_add_co_u32 v30, vcc_lo, v154, v148
	v_add_co_ci_u32_e64 v31, null, v155, v146, vcc_lo
	v_add_co_u32 v149, vcc_lo, v30, v86
	v_add_co_ci_u32_e64 v150, null, 0, v31, vcc_lo
	s_clause 0x1
	global_load_ushort v30, v[30:31], off
	global_load_dword v31, v[149:150], off offset:2
	s_waitcnt vmcnt(1)
	v_mul_u32_u24_e32 v30, 0x10001, v30
	s_waitcnt vmcnt(0)
	v_pk_lshrrev_b16 v149, 8, v31 op_sel:[1,0] op_sel_hi:[0,0]
	v_pk_lshrrev_b16 v31, 8, v31 op_sel:[1,1] op_sel_hi:[0,1]
	v_lshrrev_b32_e32 v150, 16, v149
	v_cvt_f16_i16_sdwa v149, sext(v149) dst_sel:DWORD dst_unused:UNUSED_PAD src0_sel:BYTE_0
	v_cvt_f16_i16_sdwa v150, sext(v150) dst_sel:DWORD dst_unused:UNUSED_PAD src0_sel:BYTE_0
	v_pack_b32_f16 v149, v149, v150
	v_lshrrev_b32_e32 v150, 16, v31
	v_cvt_f16_i16_sdwa v31, sext(v31) dst_sel:DWORD dst_unused:UNUSED_PAD src0_sel:BYTE_0
	v_pk_mul_f16 v149, v149, v30
	v_cvt_f16_i16_sdwa v150, sext(v150) dst_sel:DWORD dst_unused:UNUSED_PAD src0_sel:BYTE_0
	v_pk_fma_f16 v151, v149, v153, v151
	v_pack_b32_f16 v31, v31, v150
	v_pk_mul_f16 v30, v31, v30
	v_pk_fma_f16 v152, v30, v153, v152
	v_ashrrev_i32_e32 v30, 31, v82
	v_add_co_u32 v153, vcc_lo, s13, v82
	v_add_co_ci_u32_e64 v154, null, s19, v30, vcc_lo
	v_add_co_u32 v30, vcc_lo, v153, v147
	v_add_co_ci_u32_e64 v31, null, v154, v145, vcc_lo
	;; [unrolled: 2-line block ×3, first 2 shown]
	s_clause 0x1
	global_load_ushort v30, v[30:31], off
	global_load_dword v31, v[149:150], off offset:2
	s_waitcnt vmcnt(1)
	v_mul_u32_u24_e32 v30, 0x10001, v30
	s_waitcnt vmcnt(0)
	v_pk_lshrrev_b16 v149, 8, v31 op_sel:[1,0] op_sel_hi:[0,0]
	v_pk_lshrrev_b16 v31, 8, v31 op_sel:[1,1] op_sel_hi:[0,1]
	v_lshrrev_b32_e32 v150, 16, v149
	v_cvt_f16_i16_sdwa v149, sext(v149) dst_sel:DWORD dst_unused:UNUSED_PAD src0_sel:BYTE_0
	v_cvt_f16_i16_sdwa v150, sext(v150) dst_sel:DWORD dst_unused:UNUSED_PAD src0_sel:BYTE_0
	v_pack_b32_f16 v149, v149, v150
	v_lshrrev_b32_e32 v150, 16, v31
	v_cvt_f16_i16_sdwa v31, sext(v31) dst_sel:DWORD dst_unused:UNUSED_PAD src0_sel:BYTE_0
	v_pk_mul_f16 v149, v149, v30
	v_cvt_f16_i16_sdwa v150, sext(v150) dst_sel:DWORD dst_unused:UNUSED_PAD src0_sel:BYTE_0
	v_pk_fma_f16 v155, v149, v32, v156
	v_pack_b32_f16 v31, v31, v150
	v_pk_mul_f16 v30, v31, v30
	v_pk_fma_f16 v156, v30, v32, v157
	v_add_co_u32 v30, vcc_lo, v153, v148
	v_add_co_ci_u32_e64 v31, null, v154, v146, vcc_lo
	v_add_co_u32 v149, vcc_lo, v30, v86
	v_add_co_ci_u32_e64 v150, null, 0, v31, vcc_lo
	global_load_ushort v30, v[30:31], off
	v_add_co_u32 v153, vcc_lo, s13, v83
	global_load_dword v31, v[149:150], off offset:2
	s_waitcnt vmcnt(1)
	v_mul_u32_u24_e32 v30, 0x10001, v30
	s_waitcnt vmcnt(0)
	v_pk_lshrrev_b16 v149, 8, v31 op_sel:[1,0] op_sel_hi:[0,0]
	v_pk_lshrrev_b16 v31, 8, v31 op_sel:[1,1] op_sel_hi:[0,1]
	v_lshrrev_b32_e32 v150, 16, v149
	v_cvt_f16_i16_sdwa v149, sext(v149) dst_sel:DWORD dst_unused:UNUSED_PAD src0_sel:BYTE_0
	v_cvt_f16_i16_sdwa v150, sext(v150) dst_sel:DWORD dst_unused:UNUSED_PAD src0_sel:BYTE_0
	v_pack_b32_f16 v149, v149, v150
	v_lshrrev_b32_e32 v150, 16, v31
	v_cvt_f16_i16_sdwa v31, sext(v31) dst_sel:DWORD dst_unused:UNUSED_PAD src0_sel:BYTE_0
	v_pk_mul_f16 v149, v149, v30
	v_cvt_f16_i16_sdwa v150, sext(v150) dst_sel:DWORD dst_unused:UNUSED_PAD src0_sel:BYTE_0
	v_pk_fma_f16 v151, v149, v32, v151
	v_pack_b32_f16 v31, v31, v150
	v_pk_mul_f16 v30, v31, v30
	v_pk_fma_f16 v32, v30, v32, v152
	v_ashrrev_i32_e32 v30, 31, v83
	v_mul_u32_u24_sdwa v152, v33, v80 dst_sel:DWORD dst_unused:UNUSED_PAD src0_sel:WORD_0 src1_sel:DWORD
	v_add_co_ci_u32_e64 v154, null, s19, v30, vcc_lo
	v_add_co_u32 v30, vcc_lo, v153, v147
	v_add_co_ci_u32_e64 v31, null, v154, v145, vcc_lo
	v_add_co_u32 v149, vcc_lo, v30, v78
	v_add_co_ci_u32_e64 v150, null, 0, v31, vcc_lo
	s_clause 0x1
	global_load_ushort v30, v[30:31], off
	global_load_dword v31, v[149:150], off offset:2
	s_waitcnt vmcnt(1)
	v_mul_u32_u24_e32 v30, 0x10001, v30
	s_waitcnt vmcnt(0)
	v_pk_lshrrev_b16 v149, 8, v31 op_sel:[1,0] op_sel_hi:[0,0]
	v_pk_lshrrev_b16 v31, 8, v31 op_sel:[1,1] op_sel_hi:[0,1]
	v_lshrrev_b32_e32 v150, 16, v149
	v_cvt_f16_i16_sdwa v149, sext(v149) dst_sel:DWORD dst_unused:UNUSED_PAD src0_sel:BYTE_0
	v_cvt_f16_i16_sdwa v150, sext(v150) dst_sel:DWORD dst_unused:UNUSED_PAD src0_sel:BYTE_0
	v_pack_b32_f16 v149, v149, v150
	v_lshrrev_b32_e32 v150, 16, v31
	v_cvt_f16_i16_sdwa v31, sext(v31) dst_sel:DWORD dst_unused:UNUSED_PAD src0_sel:BYTE_0
	v_pk_mul_f16 v149, v149, v30
	v_cvt_f16_i16_sdwa v150, sext(v150) dst_sel:DWORD dst_unused:UNUSED_PAD src0_sel:BYTE_0
	v_pk_fma_f16 v155, v149, v152, v155
	v_pack_b32_f16 v31, v31, v150
	v_pk_mul_f16 v30, v31, v30
	v_pk_fma_f16 v156, v30, v152, v156
	v_add_co_u32 v30, vcc_lo, v153, v148
	v_add_co_ci_u32_e64 v31, null, v154, v146, vcc_lo
	v_add_co_u32 v149, vcc_lo, v30, v86
	v_add_co_ci_u32_e64 v150, null, 0, v31, vcc_lo
	s_clause 0x1
	global_load_ushort v30, v[30:31], off
	global_load_dword v31, v[149:150], off offset:2
	s_waitcnt vmcnt(1)
	v_mul_u32_u24_e32 v30, 0x10001, v30
	s_waitcnt vmcnt(0)
	v_pk_lshrrev_b16 v149, 8, v31 op_sel:[1,0] op_sel_hi:[0,0]
	v_pk_lshrrev_b16 v31, 8, v31 op_sel:[1,1] op_sel_hi:[0,1]
	v_lshrrev_b32_e32 v150, 16, v149
	v_cvt_f16_i16_sdwa v149, sext(v149) dst_sel:DWORD dst_unused:UNUSED_PAD src0_sel:BYTE_0
	v_cvt_f16_i16_sdwa v150, sext(v150) dst_sel:DWORD dst_unused:UNUSED_PAD src0_sel:BYTE_0
	v_pack_b32_f16 v149, v149, v150
	v_lshrrev_b32_e32 v150, 16, v31
	v_cvt_f16_i16_sdwa v31, sext(v31) dst_sel:DWORD dst_unused:UNUSED_PAD src0_sel:BYTE_0
	v_pk_mul_f16 v149, v149, v30
	v_cvt_f16_i16_sdwa v150, sext(v150) dst_sel:DWORD dst_unused:UNUSED_PAD src0_sel:BYTE_0
	v_pk_fma_f16 v149, v149, v152, v151
	v_pack_b32_f16 v31, v31, v150
	v_mul_u32_u24_sdwa v151, v33, v80 dst_sel:DWORD dst_unused:UNUSED_PAD src0_sel:WORD_1 src1_sel:DWORD
	v_pk_mul_f16 v30, v31, v30
	v_pk_fma_f16 v150, v30, v152, v32
	v_add_co_u32 v152, vcc_lo, s13, v85
	v_add_co_ci_u32_e64 v153, null, s19, v108, vcc_lo
	v_add_co_u32 v30, vcc_lo, v152, v147
	v_add_co_ci_u32_e64 v31, null, v153, v145, vcc_lo
	;; [unrolled: 2-line block ×3, first 2 shown]
	s_clause 0x1
	global_load_ushort v30, v[30:31], off
	global_load_dword v31, v[32:33], off offset:2
	s_waitcnt vmcnt(1)
	v_mul_u32_u24_e32 v30, 0x10001, v30
	s_waitcnt vmcnt(0)
	v_pk_lshrrev_b16 v32, 8, v31 op_sel:[1,0] op_sel_hi:[0,0]
	v_pk_lshrrev_b16 v31, 8, v31 op_sel:[1,1] op_sel_hi:[0,1]
	v_lshrrev_b32_e32 v33, 16, v32
	v_cvt_f16_i16_sdwa v32, sext(v32) dst_sel:DWORD dst_unused:UNUSED_PAD src0_sel:BYTE_0
	v_cvt_f16_i16_sdwa v33, sext(v33) dst_sel:DWORD dst_unused:UNUSED_PAD src0_sel:BYTE_0
	v_pack_b32_f16 v32, v32, v33
	v_lshrrev_b32_e32 v33, 16, v31
	v_cvt_f16_i16_sdwa v31, sext(v31) dst_sel:DWORD dst_unused:UNUSED_PAD src0_sel:BYTE_0
	v_pk_mul_f16 v32, v32, v30
	v_cvt_f16_i16_sdwa v33, sext(v33) dst_sel:DWORD dst_unused:UNUSED_PAD src0_sel:BYTE_0
	v_pk_fma_f16 v154, v32, v151, v155
	v_pack_b32_f16 v31, v31, v33
	v_pk_mul_f16 v30, v31, v30
	v_pk_fma_f16 v155, v30, v151, v156
	v_add_co_u32 v30, vcc_lo, v152, v148
	v_add_co_ci_u32_e64 v31, null, v153, v146, vcc_lo
	v_add_co_u32 v32, vcc_lo, v30, v86
	v_add_co_ci_u32_e64 v33, null, 0, v31, vcc_lo
	s_clause 0x1
	global_load_ushort v30, v[30:31], off
	global_load_dword v31, v[32:33], off offset:2
	s_waitcnt vmcnt(1)
	v_mul_u32_u24_e32 v30, 0x10001, v30
	s_waitcnt vmcnt(0)
	v_pk_lshrrev_b16 v32, 8, v31 op_sel:[1,0] op_sel_hi:[0,0]
	v_pk_lshrrev_b16 v31, 8, v31 op_sel:[1,1] op_sel_hi:[0,1]
	v_lshrrev_b32_e32 v33, 16, v32
	v_cvt_f16_i16_sdwa v32, sext(v32) dst_sel:DWORD dst_unused:UNUSED_PAD src0_sel:BYTE_0
	v_cvt_f16_i16_sdwa v33, sext(v33) dst_sel:DWORD dst_unused:UNUSED_PAD src0_sel:BYTE_0
	v_pack_b32_f16 v32, v32, v33
	v_lshrrev_b32_e32 v33, 16, v31
	v_cvt_f16_i16_sdwa v31, sext(v31) dst_sel:DWORD dst_unused:UNUSED_PAD src0_sel:BYTE_0
	v_pk_mul_f16 v32, v32, v30
	v_cvt_f16_i16_sdwa v33, sext(v33) dst_sel:DWORD dst_unused:UNUSED_PAD src0_sel:BYTE_0
	v_pk_fma_f16 v32, v32, v151, v149
	v_pack_b32_f16 v31, v31, v33
	s_waitcnt lgkmcnt(2)
	v_mul_u32_u24_sdwa v149, v26, v80 dst_sel:DWORD dst_unused:UNUSED_PAD src0_sel:WORD_0 src1_sel:DWORD
	v_mul_u32_u24_sdwa v26, v26, v80 dst_sel:DWORD dst_unused:UNUSED_PAD src0_sel:WORD_1 src1_sel:DWORD
	v_pk_mul_f16 v30, v31, v30
	v_pk_fma_f16 v33, v30, v151, v150
	v_add_co_u32 v151, vcc_lo, s13, v88
	v_add_co_ci_u32_e64 v150, null, s19, v111, vcc_lo
	v_add_co_u32 v30, vcc_lo, v151, v147
	v_add_co_ci_u32_e64 v31, null, v150, v145, vcc_lo
	;; [unrolled: 2-line block ×3, first 2 shown]
	global_load_ushort v30, v[30:31], off
	v_add_co_u32 v151, vcc_lo, v151, v148
	global_load_dword v31, v[152:153], off offset:2
	s_waitcnt vmcnt(1)
	v_mul_u32_u24_e32 v30, 0x10001, v30
	s_waitcnt vmcnt(0)
	v_pk_lshrrev_b16 v152, 8, v31 op_sel:[1,0] op_sel_hi:[0,0]
	v_pk_lshrrev_b16 v31, 8, v31 op_sel:[1,1] op_sel_hi:[0,1]
	v_lshrrev_b32_e32 v153, 16, v152
	v_cvt_f16_i16_sdwa v152, sext(v152) dst_sel:DWORD dst_unused:UNUSED_PAD src0_sel:BYTE_0
	v_cvt_f16_i16_sdwa v153, sext(v153) dst_sel:DWORD dst_unused:UNUSED_PAD src0_sel:BYTE_0
	v_pack_b32_f16 v152, v152, v153
	v_lshrrev_b32_e32 v153, 16, v31
	v_cvt_f16_i16_sdwa v31, sext(v31) dst_sel:DWORD dst_unused:UNUSED_PAD src0_sel:BYTE_0
	v_pk_mul_f16 v152, v152, v30
	v_cvt_f16_i16_sdwa v153, sext(v153) dst_sel:DWORD dst_unused:UNUSED_PAD src0_sel:BYTE_0
	v_pack_b32_f16 v31, v31, v153
	v_pk_mul_f16 v31, v31, v30
	v_pk_fma_f16 v30, v152, v149, v154
	v_add_co_ci_u32_e64 v152, null, v150, v146, vcc_lo
	v_add_co_u32 v153, vcc_lo, v151, v86
	v_pk_fma_f16 v31, v31, v149, v155
	v_add_co_ci_u32_e64 v154, null, 0, v152, vcc_lo
	s_clause 0x1
	global_load_ushort v150, v[151:152], off
	global_load_dword v151, v[153:154], off offset:2
	s_waitcnt vmcnt(1)
	v_mul_u32_u24_e32 v150, 0x10001, v150
	s_waitcnt vmcnt(0)
	v_pk_lshrrev_b16 v152, 8, v151 op_sel:[1,0] op_sel_hi:[0,0]
	v_pk_lshrrev_b16 v151, 8, v151 op_sel:[1,1] op_sel_hi:[0,1]
	v_lshrrev_b32_e32 v153, 16, v152
	v_cvt_f16_i16_sdwa v152, sext(v152) dst_sel:DWORD dst_unused:UNUSED_PAD src0_sel:BYTE_0
	v_cvt_f16_i16_sdwa v153, sext(v153) dst_sel:DWORD dst_unused:UNUSED_PAD src0_sel:BYTE_0
	v_pack_b32_f16 v152, v152, v153
	v_lshrrev_b32_e32 v153, 16, v151
	v_cvt_f16_i16_sdwa v151, sext(v151) dst_sel:DWORD dst_unused:UNUSED_PAD src0_sel:BYTE_0
	v_pk_mul_f16 v152, v152, v150
	v_cvt_f16_i16_sdwa v153, sext(v153) dst_sel:DWORD dst_unused:UNUSED_PAD src0_sel:BYTE_0
	v_pk_fma_f16 v32, v152, v149, v32
	v_pack_b32_f16 v151, v151, v153
	v_add_co_u32 v153, vcc_lo, s13, v93
	v_add_co_ci_u32_e64 v154, null, s19, v114, vcc_lo
	v_pk_mul_f16 v150, v151, v150
	v_pk_fma_f16 v33, v150, v149, v33
	v_add_co_u32 v149, vcc_lo, v153, v147
	v_add_co_ci_u32_e64 v150, null, v154, v145, vcc_lo
	v_add_co_u32 v151, vcc_lo, v149, v78
	v_add_co_ci_u32_e64 v152, null, 0, v150, vcc_lo
	s_clause 0x1
	global_load_ushort v149, v[149:150], off
	global_load_dword v150, v[151:152], off offset:2
	s_waitcnt vmcnt(1)
	v_mul_u32_u24_e32 v149, 0x10001, v149
	s_waitcnt vmcnt(0)
	v_pk_lshrrev_b16 v151, 8, v150 op_sel:[1,0] op_sel_hi:[0,0]
	v_pk_lshrrev_b16 v150, 8, v150 op_sel:[1,1] op_sel_hi:[0,1]
	v_lshrrev_b32_e32 v152, 16, v151
	v_cvt_f16_i16_sdwa v151, sext(v151) dst_sel:DWORD dst_unused:UNUSED_PAD src0_sel:BYTE_0
	v_cvt_f16_i16_sdwa v152, sext(v152) dst_sel:DWORD dst_unused:UNUSED_PAD src0_sel:BYTE_0
	v_pack_b32_f16 v151, v151, v152
	v_lshrrev_b32_e32 v152, 16, v150
	v_cvt_f16_i16_sdwa v150, sext(v150) dst_sel:DWORD dst_unused:UNUSED_PAD src0_sel:BYTE_0
	v_pk_mul_f16 v151, v151, v149
	v_cvt_f16_i16_sdwa v152, sext(v152) dst_sel:DWORD dst_unused:UNUSED_PAD src0_sel:BYTE_0
	v_pk_fma_f16 v151, v151, v26, v30
	v_pack_b32_f16 v150, v150, v152
	v_add_co_u32 v30, vcc_lo, v153, v148
	v_pk_mul_f16 v149, v150, v149
	v_pk_fma_f16 v152, v149, v26, v31
	v_add_co_ci_u32_e64 v31, null, v154, v146, vcc_lo
	v_add_co_u32 v149, vcc_lo, v30, v86
	v_add_co_ci_u32_e64 v150, null, 0, v31, vcc_lo
	global_load_ushort v30, v[30:31], off
	v_add_co_u32 v153, vcc_lo, s13, v94
	global_load_dword v31, v[149:150], off offset:2
	v_add_co_ci_u32_e64 v154, null, s19, v115, vcc_lo
	s_waitcnt vmcnt(1)
	v_mul_u32_u24_e32 v30, 0x10001, v30
	s_waitcnt vmcnt(0)
	v_pk_lshrrev_b16 v149, 8, v31 op_sel:[1,0] op_sel_hi:[0,0]
	v_pk_lshrrev_b16 v31, 8, v31 op_sel:[1,1] op_sel_hi:[0,1]
	v_lshrrev_b32_e32 v150, 16, v149
	v_cvt_f16_i16_sdwa v149, sext(v149) dst_sel:DWORD dst_unused:UNUSED_PAD src0_sel:BYTE_0
	v_cvt_f16_i16_sdwa v150, sext(v150) dst_sel:DWORD dst_unused:UNUSED_PAD src0_sel:BYTE_0
	v_pack_b32_f16 v149, v149, v150
	v_lshrrev_b32_e32 v150, 16, v31
	v_cvt_f16_i16_sdwa v31, sext(v31) dst_sel:DWORD dst_unused:UNUSED_PAD src0_sel:BYTE_0
	v_pk_mul_f16 v149, v149, v30
	v_cvt_f16_i16_sdwa v150, sext(v150) dst_sel:DWORD dst_unused:UNUSED_PAD src0_sel:BYTE_0
	v_pk_fma_f16 v149, v149, v26, v32
	v_pack_b32_f16 v31, v31, v150
	v_mul_u32_u24_sdwa v150, v27, v80 dst_sel:DWORD dst_unused:UNUSED_PAD src0_sel:WORD_0 src1_sel:DWORD
	v_pk_mul_f16 v30, v31, v30
	v_pk_fma_f16 v26, v30, v26, v33
	v_add_co_u32 v30, vcc_lo, v153, v147
	v_add_co_ci_u32_e64 v31, null, v154, v145, vcc_lo
	v_add_co_u32 v32, vcc_lo, v30, v78
	v_add_co_ci_u32_e64 v33, null, 0, v31, vcc_lo
	s_clause 0x1
	global_load_ushort v30, v[30:31], off
	global_load_dword v31, v[32:33], off offset:2
	s_waitcnt vmcnt(1)
	v_mul_u32_u24_e32 v30, 0x10001, v30
	s_waitcnt vmcnt(0)
	v_pk_lshrrev_b16 v32, 8, v31 op_sel:[1,0] op_sel_hi:[0,0]
	v_pk_lshrrev_b16 v31, 8, v31 op_sel:[1,1] op_sel_hi:[0,1]
	v_lshrrev_b32_e32 v33, 16, v32
	v_cvt_f16_i16_sdwa v32, sext(v32) dst_sel:DWORD dst_unused:UNUSED_PAD src0_sel:BYTE_0
	v_cvt_f16_i16_sdwa v33, sext(v33) dst_sel:DWORD dst_unused:UNUSED_PAD src0_sel:BYTE_0
	v_pack_b32_f16 v32, v32, v33
	v_lshrrev_b32_e32 v33, 16, v31
	v_cvt_f16_i16_sdwa v31, sext(v31) dst_sel:DWORD dst_unused:UNUSED_PAD src0_sel:BYTE_0
	v_pk_mul_f16 v32, v32, v30
	v_cvt_f16_i16_sdwa v33, sext(v33) dst_sel:DWORD dst_unused:UNUSED_PAD src0_sel:BYTE_0
	v_pk_fma_f16 v151, v32, v150, v151
	v_pack_b32_f16 v31, v31, v33
	v_pk_mul_f16 v30, v31, v30
	v_pk_fma_f16 v152, v30, v150, v152
	v_add_co_u32 v30, vcc_lo, v153, v148
	v_add_co_ci_u32_e64 v31, null, v154, v146, vcc_lo
	v_add_co_u32 v32, vcc_lo, v30, v86
	v_add_co_ci_u32_e64 v33, null, 0, v31, vcc_lo
	s_clause 0x1
	global_load_ushort v30, v[30:31], off
	global_load_dword v31, v[32:33], off offset:2
	s_waitcnt vmcnt(1)
	v_mul_u32_u24_e32 v30, 0x10001, v30
	s_waitcnt vmcnt(0)
	v_pk_lshrrev_b16 v32, 8, v31 op_sel:[1,0] op_sel_hi:[0,0]
	v_pk_lshrrev_b16 v31, 8, v31 op_sel:[1,1] op_sel_hi:[0,1]
	v_lshrrev_b32_e32 v33, 16, v32
	v_cvt_f16_i16_sdwa v32, sext(v32) dst_sel:DWORD dst_unused:UNUSED_PAD src0_sel:BYTE_0
	v_cvt_f16_i16_sdwa v33, sext(v33) dst_sel:DWORD dst_unused:UNUSED_PAD src0_sel:BYTE_0
	v_pack_b32_f16 v32, v32, v33
	v_lshrrev_b32_e32 v33, 16, v31
	v_cvt_f16_i16_sdwa v31, sext(v31) dst_sel:DWORD dst_unused:UNUSED_PAD src0_sel:BYTE_0
	v_pk_mul_f16 v32, v32, v30
	v_cvt_f16_i16_sdwa v33, sext(v33) dst_sel:DWORD dst_unused:UNUSED_PAD src0_sel:BYTE_0
	v_pk_fma_f16 v32, v32, v150, v149
	v_pack_b32_f16 v31, v31, v33
	v_mul_u32_u24_sdwa v149, v27, v80 dst_sel:DWORD dst_unused:UNUSED_PAD src0_sel:WORD_1 src1_sel:DWORD
	v_pk_mul_f16 v30, v31, v30
	v_pk_fma_f16 v33, v30, v150, v26
	v_add_co_u32 v150, vcc_lo, s13, v95
	v_add_co_ci_u32_e64 v153, null, s19, v118, vcc_lo
	v_add_co_u32 v26, vcc_lo, v150, v147
	v_add_co_ci_u32_e64 v27, null, v153, v145, vcc_lo
	v_add_co_u32 v30, vcc_lo, v26, v78
	v_add_co_ci_u32_e64 v31, null, 0, v27, vcc_lo
	s_clause 0x1
	global_load_ushort v26, v[26:27], off
	global_load_dword v27, v[30:31], off offset:2
	s_waitcnt vmcnt(1)
	v_mul_u32_u24_e32 v26, 0x10001, v26
	s_waitcnt vmcnt(0)
	v_pk_lshrrev_b16 v30, 8, v27 op_sel:[1,0] op_sel_hi:[0,0]
	v_pk_lshrrev_b16 v27, 8, v27 op_sel:[1,1] op_sel_hi:[0,1]
	v_lshrrev_b32_e32 v31, 16, v30
	v_cvt_f16_i16_sdwa v30, sext(v30) dst_sel:DWORD dst_unused:UNUSED_PAD src0_sel:BYTE_0
	v_cvt_f16_i16_sdwa v31, sext(v31) dst_sel:DWORD dst_unused:UNUSED_PAD src0_sel:BYTE_0
	v_pack_b32_f16 v30, v30, v31
	v_lshrrev_b32_e32 v31, 16, v27
	v_cvt_f16_i16_sdwa v27, sext(v27) dst_sel:DWORD dst_unused:UNUSED_PAD src0_sel:BYTE_0
	v_pk_mul_f16 v30, v30, v26
	v_cvt_f16_i16_sdwa v31, sext(v31) dst_sel:DWORD dst_unused:UNUSED_PAD src0_sel:BYTE_0
	v_pk_fma_f16 v151, v30, v149, v151
	v_pack_b32_f16 v27, v27, v31
	v_pk_mul_f16 v26, v27, v26
	v_pk_fma_f16 v152, v26, v149, v152
	v_add_co_u32 v26, vcc_lo, v150, v148
	v_add_co_ci_u32_e64 v27, null, v153, v146, vcc_lo
	v_add_co_u32 v30, vcc_lo, v26, v86
	v_add_co_ci_u32_e64 v31, null, 0, v27, vcc_lo
	global_load_ushort v26, v[26:27], off
	v_add_co_u32 v150, vcc_lo, s13, v96
	global_load_dword v27, v[30:31], off offset:2
	v_add_co_ci_u32_e64 v153, null, s19, v120, vcc_lo
	s_waitcnt vmcnt(1)
	v_mul_u32_u24_e32 v26, 0x10001, v26
	s_waitcnt vmcnt(0)
	v_pk_lshrrev_b16 v30, 8, v27 op_sel:[1,0] op_sel_hi:[0,0]
	v_pk_lshrrev_b16 v27, 8, v27 op_sel:[1,1] op_sel_hi:[0,1]
	v_lshrrev_b32_e32 v31, 16, v30
	v_cvt_f16_i16_sdwa v30, sext(v30) dst_sel:DWORD dst_unused:UNUSED_PAD src0_sel:BYTE_0
	v_cvt_f16_i16_sdwa v31, sext(v31) dst_sel:DWORD dst_unused:UNUSED_PAD src0_sel:BYTE_0
	v_pack_b32_f16 v30, v30, v31
	v_lshrrev_b32_e32 v31, 16, v27
	v_cvt_f16_i16_sdwa v27, sext(v27) dst_sel:DWORD dst_unused:UNUSED_PAD src0_sel:BYTE_0
	v_pk_mul_f16 v30, v30, v26
	v_cvt_f16_i16_sdwa v31, sext(v31) dst_sel:DWORD dst_unused:UNUSED_PAD src0_sel:BYTE_0
	v_pk_fma_f16 v32, v30, v149, v32
	v_pack_b32_f16 v27, v27, v31
	v_pk_mul_f16 v26, v27, v26
	v_pk_fma_f16 v33, v26, v149, v33
	v_add_co_u32 v26, vcc_lo, v150, v147
	v_add_co_ci_u32_e64 v27, null, v153, v145, vcc_lo
	v_mul_u32_u24_sdwa v149, v28, v80 dst_sel:DWORD dst_unused:UNUSED_PAD src0_sel:WORD_0 src1_sel:DWORD
	v_add_co_u32 v30, vcc_lo, v26, v78
	v_add_co_ci_u32_e64 v31, null, 0, v27, vcc_lo
	global_load_ushort v26, v[26:27], off
	v_mul_u32_u24_sdwa v28, v28, v80 dst_sel:DWORD dst_unused:UNUSED_PAD src0_sel:WORD_1 src1_sel:DWORD
	global_load_dword v27, v[30:31], off offset:2
	s_waitcnt vmcnt(1)
	v_mul_u32_u24_e32 v26, 0x10001, v26
	s_waitcnt vmcnt(0)
	v_pk_lshrrev_b16 v30, 8, v27 op_sel:[1,0] op_sel_hi:[0,0]
	v_pk_lshrrev_b16 v27, 8, v27 op_sel:[1,1] op_sel_hi:[0,1]
	v_lshrrev_b32_e32 v31, 16, v30
	v_cvt_f16_i16_sdwa v30, sext(v30) dst_sel:DWORD dst_unused:UNUSED_PAD src0_sel:BYTE_0
	v_cvt_f16_i16_sdwa v31, sext(v31) dst_sel:DWORD dst_unused:UNUSED_PAD src0_sel:BYTE_0
	v_pack_b32_f16 v30, v30, v31
	v_lshrrev_b32_e32 v31, 16, v27
	v_cvt_f16_i16_sdwa v27, sext(v27) dst_sel:DWORD dst_unused:UNUSED_PAD src0_sel:BYTE_0
	v_pk_mul_f16 v30, v30, v26
	v_cvt_f16_i16_sdwa v31, sext(v31) dst_sel:DWORD dst_unused:UNUSED_PAD src0_sel:BYTE_0
	v_pk_fma_f16 v151, v30, v149, v151
	v_pack_b32_f16 v27, v27, v31
	v_pk_mul_f16 v26, v27, v26
	v_pk_fma_f16 v152, v26, v149, v152
	v_add_co_u32 v26, vcc_lo, v150, v148
	v_add_co_ci_u32_e64 v27, null, v153, v146, vcc_lo
	v_add_co_u32 v30, vcc_lo, v26, v86
	v_add_co_ci_u32_e64 v31, null, 0, v27, vcc_lo
	s_clause 0x1
	global_load_ushort v26, v[26:27], off
	global_load_dword v27, v[30:31], off offset:2
	s_waitcnt vmcnt(1)
	v_mul_u32_u24_e32 v26, 0x10001, v26
	s_waitcnt vmcnt(0)
	v_pk_lshrrev_b16 v30, 8, v27 op_sel:[1,0] op_sel_hi:[0,0]
	v_pk_lshrrev_b16 v27, 8, v27 op_sel:[1,1] op_sel_hi:[0,1]
	v_lshrrev_b32_e32 v31, 16, v30
	v_cvt_f16_i16_sdwa v30, sext(v30) dst_sel:DWORD dst_unused:UNUSED_PAD src0_sel:BYTE_0
	v_cvt_f16_i16_sdwa v31, sext(v31) dst_sel:DWORD dst_unused:UNUSED_PAD src0_sel:BYTE_0
	v_pack_b32_f16 v30, v30, v31
	v_lshrrev_b32_e32 v31, 16, v27
	v_cvt_f16_i16_sdwa v27, sext(v27) dst_sel:DWORD dst_unused:UNUSED_PAD src0_sel:BYTE_0
	v_pk_mul_f16 v30, v30, v26
	v_cvt_f16_i16_sdwa v31, sext(v31) dst_sel:DWORD dst_unused:UNUSED_PAD src0_sel:BYTE_0
	v_pk_fma_f16 v32, v30, v149, v32
	v_pack_b32_f16 v27, v27, v31
	v_pk_mul_f16 v26, v27, v26
	v_pk_fma_f16 v33, v26, v149, v33
	v_add_co_u32 v149, vcc_lo, s13, v97
	v_add_co_ci_u32_e64 v150, null, s19, v121, vcc_lo
	v_add_co_u32 v26, vcc_lo, v149, v147
	v_add_co_ci_u32_e64 v27, null, v150, v145, vcc_lo
	v_add_co_u32 v30, vcc_lo, v26, v78
	v_add_co_ci_u32_e64 v31, null, 0, v27, vcc_lo
	s_clause 0x1
	global_load_ushort v26, v[26:27], off
	global_load_dword v27, v[30:31], off offset:2
	s_waitcnt vmcnt(1)
	v_mul_u32_u24_e32 v26, 0x10001, v26
	s_waitcnt vmcnt(0)
	v_pk_lshrrev_b16 v30, 8, v27 op_sel:[1,0] op_sel_hi:[0,0]
	v_pk_lshrrev_b16 v27, 8, v27 op_sel:[1,1] op_sel_hi:[0,1]
	v_lshrrev_b32_e32 v31, 16, v30
	v_cvt_f16_i16_sdwa v30, sext(v30) dst_sel:DWORD dst_unused:UNUSED_PAD src0_sel:BYTE_0
	v_cvt_f16_i16_sdwa v31, sext(v31) dst_sel:DWORD dst_unused:UNUSED_PAD src0_sel:BYTE_0
	v_pack_b32_f16 v30, v30, v31
	v_lshrrev_b32_e32 v31, 16, v27
	v_cvt_f16_i16_sdwa v27, sext(v27) dst_sel:DWORD dst_unused:UNUSED_PAD src0_sel:BYTE_0
	v_pk_mul_f16 v30, v30, v26
	v_cvt_f16_i16_sdwa v31, sext(v31) dst_sel:DWORD dst_unused:UNUSED_PAD src0_sel:BYTE_0
	v_pk_fma_f16 v151, v30, v28, v151
	v_pack_b32_f16 v27, v27, v31
	v_pk_mul_f16 v26, v27, v26
	v_pk_fma_f16 v152, v26, v28, v152
	v_add_co_u32 v26, vcc_lo, v149, v148
	v_add_co_ci_u32_e64 v27, null, v150, v146, vcc_lo
	v_add_co_u32 v30, vcc_lo, v26, v86
	v_add_co_ci_u32_e64 v31, null, 0, v27, vcc_lo
	global_load_ushort v26, v[26:27], off
	v_add_co_u32 v149, vcc_lo, s13, v98
	global_load_dword v27, v[30:31], off offset:2
	v_add_co_ci_u32_e64 v150, null, s19, v122, vcc_lo
	s_waitcnt vmcnt(1)
	v_mul_u32_u24_e32 v26, 0x10001, v26
	s_waitcnt vmcnt(0)
	v_pk_lshrrev_b16 v30, 8, v27 op_sel:[1,0] op_sel_hi:[0,0]
	v_pk_lshrrev_b16 v27, 8, v27 op_sel:[1,1] op_sel_hi:[0,1]
	v_lshrrev_b32_e32 v31, 16, v30
	v_cvt_f16_i16_sdwa v30, sext(v30) dst_sel:DWORD dst_unused:UNUSED_PAD src0_sel:BYTE_0
	v_cvt_f16_i16_sdwa v31, sext(v31) dst_sel:DWORD dst_unused:UNUSED_PAD src0_sel:BYTE_0
	v_pack_b32_f16 v30, v30, v31
	v_lshrrev_b32_e32 v31, 16, v27
	v_cvt_f16_i16_sdwa v27, sext(v27) dst_sel:DWORD dst_unused:UNUSED_PAD src0_sel:BYTE_0
	v_pk_mul_f16 v30, v30, v26
	v_cvt_f16_i16_sdwa v31, sext(v31) dst_sel:DWORD dst_unused:UNUSED_PAD src0_sel:BYTE_0
	v_pk_fma_f16 v32, v30, v28, v32
	v_pack_b32_f16 v27, v27, v31
	v_pk_mul_f16 v26, v27, v26
	v_pk_fma_f16 v28, v26, v28, v33
	v_add_co_u32 v26, vcc_lo, v149, v147
	v_add_co_ci_u32_e64 v27, null, v150, v145, vcc_lo
	v_mul_u32_u24_sdwa v33, v29, v80 dst_sel:DWORD dst_unused:UNUSED_PAD src0_sel:WORD_0 src1_sel:DWORD
	v_add_co_u32 v30, vcc_lo, v26, v78
	v_add_co_ci_u32_e64 v31, null, 0, v27, vcc_lo
	s_clause 0x1
	global_load_ushort v26, v[26:27], off
	global_load_dword v27, v[30:31], off offset:2
	s_waitcnt vmcnt(1)
	v_mul_u32_u24_e32 v26, 0x10001, v26
	s_waitcnt vmcnt(0)
	v_pk_lshrrev_b16 v30, 8, v27 op_sel:[1,0] op_sel_hi:[0,0]
	v_pk_lshrrev_b16 v27, 8, v27 op_sel:[1,1] op_sel_hi:[0,1]
	v_lshrrev_b32_e32 v31, 16, v30
	v_cvt_f16_i16_sdwa v30, sext(v30) dst_sel:DWORD dst_unused:UNUSED_PAD src0_sel:BYTE_0
	v_cvt_f16_i16_sdwa v31, sext(v31) dst_sel:DWORD dst_unused:UNUSED_PAD src0_sel:BYTE_0
	v_pack_b32_f16 v30, v30, v31
	v_lshrrev_b32_e32 v31, 16, v27
	v_cvt_f16_i16_sdwa v27, sext(v27) dst_sel:DWORD dst_unused:UNUSED_PAD src0_sel:BYTE_0
	v_pk_mul_f16 v30, v30, v26
	v_cvt_f16_i16_sdwa v31, sext(v31) dst_sel:DWORD dst_unused:UNUSED_PAD src0_sel:BYTE_0
	v_pk_fma_f16 v151, v30, v33, v151
	v_pack_b32_f16 v27, v27, v31
	v_pk_mul_f16 v26, v27, v26
	v_pk_fma_f16 v152, v26, v33, v152
	v_add_co_u32 v26, vcc_lo, v149, v148
	v_add_co_ci_u32_e64 v27, null, v150, v146, vcc_lo
	v_add_co_u32 v30, vcc_lo, v26, v86
	v_add_co_ci_u32_e64 v31, null, 0, v27, vcc_lo
	s_clause 0x1
	global_load_ushort v26, v[26:27], off
	global_load_dword v27, v[30:31], off offset:2
	s_waitcnt vmcnt(1)
	v_mul_u32_u24_e32 v26, 0x10001, v26
	s_waitcnt vmcnt(0)
	v_pk_lshrrev_b16 v30, 8, v27 op_sel:[1,0] op_sel_hi:[0,0]
	v_pk_lshrrev_b16 v27, 8, v27 op_sel:[1,1] op_sel_hi:[0,1]
	v_lshrrev_b32_e32 v31, 16, v30
	v_cvt_f16_i16_sdwa v30, sext(v30) dst_sel:DWORD dst_unused:UNUSED_PAD src0_sel:BYTE_0
	v_cvt_f16_i16_sdwa v31, sext(v31) dst_sel:DWORD dst_unused:UNUSED_PAD src0_sel:BYTE_0
	v_pack_b32_f16 v30, v30, v31
	v_lshrrev_b32_e32 v31, 16, v27
	v_cvt_f16_i16_sdwa v27, sext(v27) dst_sel:DWORD dst_unused:UNUSED_PAD src0_sel:BYTE_0
	v_pk_mul_f16 v30, v30, v26
	v_cvt_f16_i16_sdwa v31, sext(v31) dst_sel:DWORD dst_unused:UNUSED_PAD src0_sel:BYTE_0
	v_pk_fma_f16 v30, v30, v33, v32
	v_pack_b32_f16 v27, v27, v31
	v_mul_u32_u24_sdwa v32, v29, v80 dst_sel:DWORD dst_unused:UNUSED_PAD src0_sel:WORD_1 src1_sel:DWORD
	v_pk_mul_f16 v26, v27, v26
	v_pk_fma_f16 v31, v26, v33, v28
	v_add_co_u32 v33, vcc_lo, s13, v99
	v_add_co_ci_u32_e64 v149, null, s19, v124, vcc_lo
	v_add_co_u32 v26, vcc_lo, v33, v147
	v_add_co_ci_u32_e64 v27, null, v149, v145, vcc_lo
	;; [unrolled: 2-line block ×3, first 2 shown]
	s_clause 0x1
	global_load_ushort v26, v[26:27], off
	global_load_dword v27, v[28:29], off offset:2
	s_waitcnt vmcnt(1)
	v_mul_u32_u24_e32 v26, 0x10001, v26
	s_waitcnt vmcnt(0)
	v_pk_lshrrev_b16 v28, 8, v27 op_sel:[1,0] op_sel_hi:[0,0]
	v_pk_lshrrev_b16 v27, 8, v27 op_sel:[1,1] op_sel_hi:[0,1]
	v_lshrrev_b32_e32 v29, 16, v28
	v_cvt_f16_i16_sdwa v28, sext(v28) dst_sel:DWORD dst_unused:UNUSED_PAD src0_sel:BYTE_0
	v_cvt_f16_i16_sdwa v29, sext(v29) dst_sel:DWORD dst_unused:UNUSED_PAD src0_sel:BYTE_0
	v_pack_b32_f16 v28, v28, v29
	v_lshrrev_b32_e32 v29, 16, v27
	v_cvt_f16_i16_sdwa v27, sext(v27) dst_sel:DWORD dst_unused:UNUSED_PAD src0_sel:BYTE_0
	v_pk_mul_f16 v28, v28, v26
	v_cvt_f16_i16_sdwa v29, sext(v29) dst_sel:DWORD dst_unused:UNUSED_PAD src0_sel:BYTE_0
	v_pk_fma_f16 v150, v28, v32, v151
	v_pack_b32_f16 v27, v27, v29
	v_pk_mul_f16 v26, v27, v26
	v_pk_fma_f16 v151, v26, v32, v152
	v_add_co_u32 v26, vcc_lo, v33, v148
	v_add_co_ci_u32_e64 v27, null, v149, v146, vcc_lo
	v_add_co_u32 v28, vcc_lo, v26, v86
	v_add_co_ci_u32_e64 v29, null, 0, v27, vcc_lo
	global_load_ushort v26, v[26:27], off
	v_add_co_u32 v33, vcc_lo, s13, v100
	global_load_dword v27, v[28:29], off offset:2
	v_add_co_ci_u32_e64 v149, null, s19, v125, vcc_lo
	s_waitcnt vmcnt(1)
	v_mul_u32_u24_e32 v26, 0x10001, v26
	s_waitcnt vmcnt(0)
	v_pk_lshrrev_b16 v28, 8, v27 op_sel:[1,0] op_sel_hi:[0,0]
	v_pk_lshrrev_b16 v27, 8, v27 op_sel:[1,1] op_sel_hi:[0,1]
	v_lshrrev_b32_e32 v29, 16, v28
	v_cvt_f16_i16_sdwa v28, sext(v28) dst_sel:DWORD dst_unused:UNUSED_PAD src0_sel:BYTE_0
	v_cvt_f16_i16_sdwa v29, sext(v29) dst_sel:DWORD dst_unused:UNUSED_PAD src0_sel:BYTE_0
	v_pack_b32_f16 v28, v28, v29
	v_lshrrev_b32_e32 v29, 16, v27
	v_cvt_f16_i16_sdwa v27, sext(v27) dst_sel:DWORD dst_unused:UNUSED_PAD src0_sel:BYTE_0
	v_pk_mul_f16 v28, v28, v26
	v_cvt_f16_i16_sdwa v29, sext(v29) dst_sel:DWORD dst_unused:UNUSED_PAD src0_sel:BYTE_0
	v_pk_fma_f16 v30, v28, v32, v30
	v_pack_b32_f16 v27, v27, v29
	v_pk_mul_f16 v26, v27, v26
	v_pk_fma_f16 v31, v26, v32, v31
	v_add_co_u32 v26, vcc_lo, v33, v147
	v_add_co_ci_u32_e64 v27, null, v149, v145, vcc_lo
	s_waitcnt lgkmcnt(1)
	v_mul_u32_u24_sdwa v32, v22, v80 dst_sel:DWORD dst_unused:UNUSED_PAD src0_sel:WORD_0 src1_sel:DWORD
	v_add_co_u32 v28, vcc_lo, v26, v78
	v_add_co_ci_u32_e64 v29, null, 0, v27, vcc_lo
	global_load_ushort v26, v[26:27], off
	v_mul_u32_u24_sdwa v22, v22, v80 dst_sel:DWORD dst_unused:UNUSED_PAD src0_sel:WORD_1 src1_sel:DWORD
	global_load_dword v27, v[28:29], off offset:2
	s_waitcnt vmcnt(1)
	v_mul_u32_u24_e32 v26, 0x10001, v26
	s_waitcnt vmcnt(0)
	v_pk_lshrrev_b16 v28, 8, v27 op_sel:[1,0] op_sel_hi:[0,0]
	v_pk_lshrrev_b16 v27, 8, v27 op_sel:[1,1] op_sel_hi:[0,1]
	v_lshrrev_b32_e32 v29, 16, v28
	v_cvt_f16_i16_sdwa v28, sext(v28) dst_sel:DWORD dst_unused:UNUSED_PAD src0_sel:BYTE_0
	v_cvt_f16_i16_sdwa v29, sext(v29) dst_sel:DWORD dst_unused:UNUSED_PAD src0_sel:BYTE_0
	v_pack_b32_f16 v28, v28, v29
	v_lshrrev_b32_e32 v29, 16, v27
	v_cvt_f16_i16_sdwa v27, sext(v27) dst_sel:DWORD dst_unused:UNUSED_PAD src0_sel:BYTE_0
	v_pk_mul_f16 v28, v28, v26
	v_cvt_f16_i16_sdwa v29, sext(v29) dst_sel:DWORD dst_unused:UNUSED_PAD src0_sel:BYTE_0
	v_pk_fma_f16 v150, v28, v32, v150
	v_pack_b32_f16 v27, v27, v29
	v_pk_mul_f16 v26, v27, v26
	v_pk_fma_f16 v151, v26, v32, v151
	v_add_co_u32 v26, vcc_lo, v33, v148
	v_add_co_ci_u32_e64 v27, null, v149, v146, vcc_lo
	v_add_co_u32 v28, vcc_lo, v26, v86
	v_add_co_ci_u32_e64 v29, null, 0, v27, vcc_lo
	s_clause 0x1
	global_load_ushort v26, v[26:27], off
	global_load_dword v27, v[28:29], off offset:2
	s_waitcnt vmcnt(1)
	v_mul_u32_u24_e32 v26, 0x10001, v26
	s_waitcnt vmcnt(0)
	v_pk_lshrrev_b16 v28, 8, v27 op_sel:[1,0] op_sel_hi:[0,0]
	v_pk_lshrrev_b16 v27, 8, v27 op_sel:[1,1] op_sel_hi:[0,1]
	v_lshrrev_b32_e32 v29, 16, v28
	v_cvt_f16_i16_sdwa v28, sext(v28) dst_sel:DWORD dst_unused:UNUSED_PAD src0_sel:BYTE_0
	v_cvt_f16_i16_sdwa v29, sext(v29) dst_sel:DWORD dst_unused:UNUSED_PAD src0_sel:BYTE_0
	v_pack_b32_f16 v28, v28, v29
	v_lshrrev_b32_e32 v29, 16, v27
	v_cvt_f16_i16_sdwa v27, sext(v27) dst_sel:DWORD dst_unused:UNUSED_PAD src0_sel:BYTE_0
	v_pk_mul_f16 v28, v28, v26
	v_cvt_f16_i16_sdwa v29, sext(v29) dst_sel:DWORD dst_unused:UNUSED_PAD src0_sel:BYTE_0
	v_pk_fma_f16 v30, v28, v32, v30
	v_pack_b32_f16 v27, v27, v29
	v_pk_mul_f16 v26, v27, v26
	v_pk_fma_f16 v31, v26, v32, v31
	v_add_co_u32 v32, vcc_lo, s13, v101
	v_add_co_ci_u32_e64 v33, null, s19, v126, vcc_lo
	v_add_co_u32 v26, vcc_lo, v32, v147
	v_add_co_ci_u32_e64 v27, null, v33, v145, vcc_lo
	;; [unrolled: 2-line block ×3, first 2 shown]
	s_clause 0x1
	global_load_ushort v26, v[26:27], off
	global_load_dword v27, v[28:29], off offset:2
	s_waitcnt vmcnt(1)
	v_mul_u32_u24_e32 v26, 0x10001, v26
	s_waitcnt vmcnt(0)
	v_pk_lshrrev_b16 v28, 8, v27 op_sel:[1,0] op_sel_hi:[0,0]
	v_pk_lshrrev_b16 v27, 8, v27 op_sel:[1,1] op_sel_hi:[0,1]
	v_lshrrev_b32_e32 v29, 16, v28
	v_cvt_f16_i16_sdwa v28, sext(v28) dst_sel:DWORD dst_unused:UNUSED_PAD src0_sel:BYTE_0
	v_cvt_f16_i16_sdwa v29, sext(v29) dst_sel:DWORD dst_unused:UNUSED_PAD src0_sel:BYTE_0
	v_pack_b32_f16 v28, v28, v29
	v_lshrrev_b32_e32 v29, 16, v27
	v_cvt_f16_i16_sdwa v27, sext(v27) dst_sel:DWORD dst_unused:UNUSED_PAD src0_sel:BYTE_0
	v_pk_mul_f16 v28, v28, v26
	v_cvt_f16_i16_sdwa v29, sext(v29) dst_sel:DWORD dst_unused:UNUSED_PAD src0_sel:BYTE_0
	v_pk_fma_f16 v149, v28, v22, v150
	v_pack_b32_f16 v27, v27, v29
	v_pk_mul_f16 v26, v27, v26
	v_pk_fma_f16 v150, v26, v22, v151
	v_add_co_u32 v26, vcc_lo, v32, v148
	v_add_co_ci_u32_e64 v27, null, v33, v146, vcc_lo
	v_add_co_u32 v28, vcc_lo, v26, v86
	v_add_co_ci_u32_e64 v29, null, 0, v27, vcc_lo
	global_load_ushort v26, v[26:27], off
	v_add_co_u32 v32, vcc_lo, s13, v103
	global_load_dword v27, v[28:29], off offset:2
	v_add_co_ci_u32_e64 v33, null, s19, v127, vcc_lo
	s_waitcnt vmcnt(1)
	v_mul_u32_u24_e32 v26, 0x10001, v26
	s_waitcnt vmcnt(0)
	v_pk_lshrrev_b16 v28, 8, v27 op_sel:[1,0] op_sel_hi:[0,0]
	v_pk_lshrrev_b16 v27, 8, v27 op_sel:[1,1] op_sel_hi:[0,1]
	v_lshrrev_b32_e32 v29, 16, v28
	v_cvt_f16_i16_sdwa v28, sext(v28) dst_sel:DWORD dst_unused:UNUSED_PAD src0_sel:BYTE_0
	v_cvt_f16_i16_sdwa v29, sext(v29) dst_sel:DWORD dst_unused:UNUSED_PAD src0_sel:BYTE_0
	v_pack_b32_f16 v28, v28, v29
	v_lshrrev_b32_e32 v29, 16, v27
	v_cvt_f16_i16_sdwa v27, sext(v27) dst_sel:DWORD dst_unused:UNUSED_PAD src0_sel:BYTE_0
	v_pk_mul_f16 v28, v28, v26
	v_cvt_f16_i16_sdwa v29, sext(v29) dst_sel:DWORD dst_unused:UNUSED_PAD src0_sel:BYTE_0
	v_pk_fma_f16 v30, v28, v22, v30
	v_pack_b32_f16 v27, v27, v29
	v_pk_mul_f16 v26, v27, v26
	v_pk_fma_f16 v22, v26, v22, v31
	v_add_co_u32 v26, vcc_lo, v32, v147
	v_add_co_ci_u32_e64 v27, null, v33, v145, vcc_lo
	v_mul_u32_u24_sdwa v31, v23, v80 dst_sel:DWORD dst_unused:UNUSED_PAD src0_sel:WORD_0 src1_sel:DWORD
	v_add_co_u32 v28, vcc_lo, v26, v78
	v_add_co_ci_u32_e64 v29, null, 0, v27, vcc_lo
	s_clause 0x1
	global_load_ushort v26, v[26:27], off
	global_load_dword v27, v[28:29], off offset:2
	s_waitcnt vmcnt(1)
	v_mul_u32_u24_e32 v26, 0x10001, v26
	s_waitcnt vmcnt(0)
	v_pk_lshrrev_b16 v28, 8, v27 op_sel:[1,0] op_sel_hi:[0,0]
	v_pk_lshrrev_b16 v27, 8, v27 op_sel:[1,1] op_sel_hi:[0,1]
	v_lshrrev_b32_e32 v29, 16, v28
	v_cvt_f16_i16_sdwa v28, sext(v28) dst_sel:DWORD dst_unused:UNUSED_PAD src0_sel:BYTE_0
	v_cvt_f16_i16_sdwa v29, sext(v29) dst_sel:DWORD dst_unused:UNUSED_PAD src0_sel:BYTE_0
	v_pack_b32_f16 v28, v28, v29
	v_lshrrev_b32_e32 v29, 16, v27
	v_cvt_f16_i16_sdwa v27, sext(v27) dst_sel:DWORD dst_unused:UNUSED_PAD src0_sel:BYTE_0
	v_pk_mul_f16 v28, v28, v26
	v_cvt_f16_i16_sdwa v29, sext(v29) dst_sel:DWORD dst_unused:UNUSED_PAD src0_sel:BYTE_0
	v_pk_fma_f16 v149, v28, v31, v149
	v_pack_b32_f16 v27, v27, v29
	v_pk_mul_f16 v26, v27, v26
	v_pk_fma_f16 v150, v26, v31, v150
	v_add_co_u32 v26, vcc_lo, v32, v148
	v_add_co_ci_u32_e64 v27, null, v33, v146, vcc_lo
	v_add_co_u32 v28, vcc_lo, v26, v86
	v_add_co_ci_u32_e64 v29, null, 0, v27, vcc_lo
	s_clause 0x1
	global_load_ushort v26, v[26:27], off
	global_load_dword v27, v[28:29], off offset:2
	s_waitcnt vmcnt(1)
	v_mul_u32_u24_e32 v26, 0x10001, v26
	s_waitcnt vmcnt(0)
	v_pk_lshrrev_b16 v28, 8, v27 op_sel:[1,0] op_sel_hi:[0,0]
	v_pk_lshrrev_b16 v27, 8, v27 op_sel:[1,1] op_sel_hi:[0,1]
	v_lshrrev_b32_e32 v29, 16, v28
	v_cvt_f16_i16_sdwa v28, sext(v28) dst_sel:DWORD dst_unused:UNUSED_PAD src0_sel:BYTE_0
	v_cvt_f16_i16_sdwa v29, sext(v29) dst_sel:DWORD dst_unused:UNUSED_PAD src0_sel:BYTE_0
	v_pack_b32_f16 v28, v28, v29
	v_lshrrev_b32_e32 v29, 16, v27
	v_cvt_f16_i16_sdwa v27, sext(v27) dst_sel:DWORD dst_unused:UNUSED_PAD src0_sel:BYTE_0
	v_pk_mul_f16 v28, v28, v26
	v_cvt_f16_i16_sdwa v29, sext(v29) dst_sel:DWORD dst_unused:UNUSED_PAD src0_sel:BYTE_0
	v_pack_b32_f16 v27, v27, v29
	v_pk_mul_f16 v27, v27, v26
	v_pk_fma_f16 v26, v28, v31, v30
	v_mul_u32_u24_sdwa v28, v23, v80 dst_sel:DWORD dst_unused:UNUSED_PAD src0_sel:WORD_1 src1_sel:DWORD
	v_pk_fma_f16 v27, v27, v31, v22
	v_add_co_u32 v31, vcc_lo, s13, v105
	v_add_co_ci_u32_e64 v32, null, s19, v129, vcc_lo
	v_add_co_u32 v22, vcc_lo, v31, v147
	v_add_co_ci_u32_e64 v23, null, v32, v145, vcc_lo
	;; [unrolled: 2-line block ×3, first 2 shown]
	s_clause 0x1
	global_load_ushort v22, v[22:23], off
	global_load_dword v23, v[29:30], off offset:2
	s_waitcnt vmcnt(1)
	v_mul_u32_u24_e32 v22, 0x10001, v22
	s_waitcnt vmcnt(0)
	v_pk_lshrrev_b16 v29, 8, v23 op_sel:[1,0] op_sel_hi:[0,0]
	v_pk_lshrrev_b16 v23, 8, v23 op_sel:[1,1] op_sel_hi:[0,1]
	v_lshrrev_b32_e32 v30, 16, v29
	v_cvt_f16_i16_sdwa v29, sext(v29) dst_sel:DWORD dst_unused:UNUSED_PAD src0_sel:BYTE_0
	v_cvt_f16_i16_sdwa v30, sext(v30) dst_sel:DWORD dst_unused:UNUSED_PAD src0_sel:BYTE_0
	v_pack_b32_f16 v29, v29, v30
	v_lshrrev_b32_e32 v30, 16, v23
	v_cvt_f16_i16_sdwa v23, sext(v23) dst_sel:DWORD dst_unused:UNUSED_PAD src0_sel:BYTE_0
	v_pk_mul_f16 v29, v29, v22
	v_cvt_f16_i16_sdwa v30, sext(v30) dst_sel:DWORD dst_unused:UNUSED_PAD src0_sel:BYTE_0
	v_pack_b32_f16 v23, v23, v30
	v_pk_mul_f16 v23, v23, v22
	v_pk_fma_f16 v22, v29, v28, v149
	v_add_co_u32 v29, vcc_lo, v31, v148
	v_add_co_ci_u32_e64 v30, null, v32, v146, vcc_lo
	v_pk_fma_f16 v23, v23, v28, v150
	v_add_co_u32 v31, vcc_lo, v29, v86
	v_add_co_ci_u32_e64 v32, null, 0, v30, vcc_lo
	global_load_ushort v29, v[29:30], off
	v_add_co_u32 v33, vcc_lo, s13, v106
	global_load_dword v30, v[31:32], off offset:2
	v_add_co_ci_u32_e64 v149, null, s19, v130, vcc_lo
	s_waitcnt vmcnt(1)
	v_mul_u32_u24_e32 v29, 0x10001, v29
	s_waitcnt vmcnt(0)
	v_pk_lshrrev_b16 v31, 8, v30 op_sel:[1,0] op_sel_hi:[0,0]
	v_pk_lshrrev_b16 v30, 8, v30 op_sel:[1,1] op_sel_hi:[0,1]
	v_lshrrev_b32_e32 v32, 16, v31
	v_cvt_f16_i16_sdwa v31, sext(v31) dst_sel:DWORD dst_unused:UNUSED_PAD src0_sel:BYTE_0
	v_cvt_f16_i16_sdwa v32, sext(v32) dst_sel:DWORD dst_unused:UNUSED_PAD src0_sel:BYTE_0
	v_pack_b32_f16 v31, v31, v32
	v_lshrrev_b32_e32 v32, 16, v30
	v_cvt_f16_i16_sdwa v30, sext(v30) dst_sel:DWORD dst_unused:UNUSED_PAD src0_sel:BYTE_0
	v_pk_mul_f16 v31, v31, v29
	v_cvt_f16_i16_sdwa v32, sext(v32) dst_sel:DWORD dst_unused:UNUSED_PAD src0_sel:BYTE_0
	v_pk_fma_f16 v26, v31, v28, v26
	v_pack_b32_f16 v30, v30, v32
	v_pk_mul_f16 v29, v30, v29
	v_pk_fma_f16 v27, v29, v28, v27
	v_add_co_u32 v29, vcc_lo, v33, v147
	v_add_co_ci_u32_e64 v30, null, v149, v145, vcc_lo
	v_mul_u32_u24_sdwa v28, v24, v80 dst_sel:DWORD dst_unused:UNUSED_PAD src0_sel:WORD_0 src1_sel:DWORD
	v_add_co_u32 v31, vcc_lo, v29, v78
	v_add_co_ci_u32_e64 v32, null, 0, v30, vcc_lo
	global_load_ushort v29, v[29:30], off
	v_mul_u32_u24_sdwa v24, v24, v80 dst_sel:DWORD dst_unused:UNUSED_PAD src0_sel:WORD_1 src1_sel:DWORD
	global_load_dword v30, v[31:32], off offset:2
	s_waitcnt vmcnt(1)
	v_mul_u32_u24_e32 v29, 0x10001, v29
	s_waitcnt vmcnt(0)
	v_pk_lshrrev_b16 v31, 8, v30 op_sel:[1,0] op_sel_hi:[0,0]
	v_pk_lshrrev_b16 v30, 8, v30 op_sel:[1,1] op_sel_hi:[0,1]
	v_lshrrev_b32_e32 v32, 16, v31
	v_cvt_f16_i16_sdwa v31, sext(v31) dst_sel:DWORD dst_unused:UNUSED_PAD src0_sel:BYTE_0
	v_cvt_f16_i16_sdwa v32, sext(v32) dst_sel:DWORD dst_unused:UNUSED_PAD src0_sel:BYTE_0
	v_pack_b32_f16 v31, v31, v32
	v_lshrrev_b32_e32 v32, 16, v30
	v_cvt_f16_i16_sdwa v30, sext(v30) dst_sel:DWORD dst_unused:UNUSED_PAD src0_sel:BYTE_0
	v_pk_mul_f16 v31, v31, v29
	v_cvt_f16_i16_sdwa v32, sext(v32) dst_sel:DWORD dst_unused:UNUSED_PAD src0_sel:BYTE_0
	v_pk_fma_f16 v22, v31, v28, v22
	v_pack_b32_f16 v30, v30, v32
	v_pk_mul_f16 v29, v30, v29
	v_pk_fma_f16 v23, v29, v28, v23
	v_add_co_u32 v29, vcc_lo, v33, v148
	v_add_co_ci_u32_e64 v30, null, v149, v146, vcc_lo
	v_add_co_u32 v31, vcc_lo, v29, v86
	v_add_co_ci_u32_e64 v32, null, 0, v30, vcc_lo
	s_clause 0x1
	global_load_ushort v29, v[29:30], off
	global_load_dword v30, v[31:32], off offset:2
	s_waitcnt vmcnt(1)
	v_mul_u32_u24_e32 v29, 0x10001, v29
	s_waitcnt vmcnt(0)
	v_pk_lshrrev_b16 v31, 8, v30 op_sel:[1,0] op_sel_hi:[0,0]
	v_pk_lshrrev_b16 v30, 8, v30 op_sel:[1,1] op_sel_hi:[0,1]
	v_lshrrev_b32_e32 v32, 16, v31
	v_cvt_f16_i16_sdwa v31, sext(v31) dst_sel:DWORD dst_unused:UNUSED_PAD src0_sel:BYTE_0
	v_cvt_f16_i16_sdwa v32, sext(v32) dst_sel:DWORD dst_unused:UNUSED_PAD src0_sel:BYTE_0
	v_pack_b32_f16 v31, v31, v32
	v_lshrrev_b32_e32 v32, 16, v30
	v_cvt_f16_i16_sdwa v30, sext(v30) dst_sel:DWORD dst_unused:UNUSED_PAD src0_sel:BYTE_0
	v_pk_mul_f16 v31, v31, v29
	v_cvt_f16_i16_sdwa v32, sext(v32) dst_sel:DWORD dst_unused:UNUSED_PAD src0_sel:BYTE_0
	v_pack_b32_f16 v30, v30, v32
	v_add_co_u32 v32, vcc_lo, s13, v109
	v_add_co_ci_u32_e64 v33, null, s19, v131, vcc_lo
	v_pk_mul_f16 v29, v30, v29
	v_pk_fma_f16 v30, v31, v28, v26
	v_add_co_u32 v26, vcc_lo, v32, v147
	v_pk_fma_f16 v31, v29, v28, v27
	v_add_co_ci_u32_e64 v27, null, v33, v145, vcc_lo
	v_add_co_u32 v28, vcc_lo, v26, v78
	v_add_co_ci_u32_e64 v29, null, 0, v27, vcc_lo
	s_clause 0x1
	global_load_ushort v26, v[26:27], off
	global_load_dword v27, v[28:29], off offset:2
	s_waitcnt vmcnt(1)
	v_mul_u32_u24_e32 v26, 0x10001, v26
	s_waitcnt vmcnt(0)
	v_pk_lshrrev_b16 v28, 8, v27 op_sel:[1,0] op_sel_hi:[0,0]
	v_pk_lshrrev_b16 v27, 8, v27 op_sel:[1,1] op_sel_hi:[0,1]
	v_lshrrev_b32_e32 v29, 16, v28
	v_cvt_f16_i16_sdwa v28, sext(v28) dst_sel:DWORD dst_unused:UNUSED_PAD src0_sel:BYTE_0
	v_cvt_f16_i16_sdwa v29, sext(v29) dst_sel:DWORD dst_unused:UNUSED_PAD src0_sel:BYTE_0
	v_pack_b32_f16 v28, v28, v29
	v_lshrrev_b32_e32 v29, 16, v27
	v_cvt_f16_i16_sdwa v27, sext(v27) dst_sel:DWORD dst_unused:UNUSED_PAD src0_sel:BYTE_0
	v_pk_mul_f16 v28, v28, v26
	v_cvt_f16_i16_sdwa v29, sext(v29) dst_sel:DWORD dst_unused:UNUSED_PAD src0_sel:BYTE_0
	v_pk_fma_f16 v28, v28, v24, v22
	v_pack_b32_f16 v27, v27, v29
	v_add_co_u32 v22, vcc_lo, v32, v148
	v_pk_mul_f16 v26, v27, v26
	v_pk_fma_f16 v29, v26, v24, v23
	v_add_co_ci_u32_e64 v23, null, v33, v146, vcc_lo
	v_add_co_u32 v26, vcc_lo, v22, v86
	v_add_co_ci_u32_e64 v27, null, 0, v23, vcc_lo
	global_load_ushort v22, v[22:23], off
	v_add_co_u32 v32, vcc_lo, s13, v110
	global_load_dword v23, v[26:27], off offset:2
	v_add_co_ci_u32_e64 v33, null, s19, v132, vcc_lo
	s_waitcnt vmcnt(1)
	v_mul_u32_u24_e32 v22, 0x10001, v22
	s_waitcnt vmcnt(0)
	v_pk_lshrrev_b16 v26, 8, v23 op_sel:[1,0] op_sel_hi:[0,0]
	v_pk_lshrrev_b16 v23, 8, v23 op_sel:[1,1] op_sel_hi:[0,1]
	v_lshrrev_b32_e32 v27, 16, v26
	v_cvt_f16_i16_sdwa v26, sext(v26) dst_sel:DWORD dst_unused:UNUSED_PAD src0_sel:BYTE_0
	v_cvt_f16_i16_sdwa v27, sext(v27) dst_sel:DWORD dst_unused:UNUSED_PAD src0_sel:BYTE_0
	v_pack_b32_f16 v26, v26, v27
	v_lshrrev_b32_e32 v27, 16, v23
	v_cvt_f16_i16_sdwa v23, sext(v23) dst_sel:DWORD dst_unused:UNUSED_PAD src0_sel:BYTE_0
	v_pk_mul_f16 v26, v26, v22
	v_cvt_f16_i16_sdwa v27, sext(v27) dst_sel:DWORD dst_unused:UNUSED_PAD src0_sel:BYTE_0
	v_pk_fma_f16 v30, v26, v24, v30
	v_pack_b32_f16 v23, v23, v27
	v_pk_mul_f16 v22, v23, v22
	v_pk_fma_f16 v24, v22, v24, v31
	v_add_co_u32 v22, vcc_lo, v32, v147
	v_add_co_ci_u32_e64 v23, null, v33, v145, vcc_lo
	v_mul_u32_u24_sdwa v31, v25, v80 dst_sel:DWORD dst_unused:UNUSED_PAD src0_sel:WORD_0 src1_sel:DWORD
	v_add_co_u32 v26, vcc_lo, v22, v78
	v_add_co_ci_u32_e64 v27, null, 0, v23, vcc_lo
	s_clause 0x1
	global_load_ushort v22, v[22:23], off
	global_load_dword v23, v[26:27], off offset:2
	s_waitcnt vmcnt(1)
	v_mul_u32_u24_e32 v22, 0x10001, v22
	s_waitcnt vmcnt(0)
	v_pk_lshrrev_b16 v26, 8, v23 op_sel:[1,0] op_sel_hi:[0,0]
	v_pk_lshrrev_b16 v23, 8, v23 op_sel:[1,1] op_sel_hi:[0,1]
	v_lshrrev_b32_e32 v27, 16, v26
	v_cvt_f16_i16_sdwa v26, sext(v26) dst_sel:DWORD dst_unused:UNUSED_PAD src0_sel:BYTE_0
	v_cvt_f16_i16_sdwa v27, sext(v27) dst_sel:DWORD dst_unused:UNUSED_PAD src0_sel:BYTE_0
	v_pack_b32_f16 v26, v26, v27
	v_lshrrev_b32_e32 v27, 16, v23
	v_cvt_f16_i16_sdwa v23, sext(v23) dst_sel:DWORD dst_unused:UNUSED_PAD src0_sel:BYTE_0
	v_pk_mul_f16 v26, v26, v22
	v_cvt_f16_i16_sdwa v27, sext(v27) dst_sel:DWORD dst_unused:UNUSED_PAD src0_sel:BYTE_0
	v_pk_fma_f16 v28, v26, v31, v28
	v_pack_b32_f16 v23, v23, v27
	v_pk_mul_f16 v22, v23, v22
	v_pk_fma_f16 v29, v22, v31, v29
	v_add_co_u32 v22, vcc_lo, v32, v148
	v_add_co_ci_u32_e64 v23, null, v33, v146, vcc_lo
	v_add_co_u32 v26, vcc_lo, v22, v86
	v_add_co_ci_u32_e64 v27, null, 0, v23, vcc_lo
	s_clause 0x1
	global_load_ushort v22, v[22:23], off
	global_load_dword v23, v[26:27], off offset:2
	s_waitcnt vmcnt(1)
	v_mul_u32_u24_e32 v22, 0x10001, v22
	s_waitcnt vmcnt(0)
	v_pk_lshrrev_b16 v26, 8, v23 op_sel:[1,0] op_sel_hi:[0,0]
	v_pk_lshrrev_b16 v23, 8, v23 op_sel:[1,1] op_sel_hi:[0,1]
	v_lshrrev_b32_e32 v27, 16, v26
	v_cvt_f16_i16_sdwa v26, sext(v26) dst_sel:DWORD dst_unused:UNUSED_PAD src0_sel:BYTE_0
	v_cvt_f16_i16_sdwa v27, sext(v27) dst_sel:DWORD dst_unused:UNUSED_PAD src0_sel:BYTE_0
	v_pack_b32_f16 v26, v26, v27
	v_lshrrev_b32_e32 v27, 16, v23
	v_cvt_f16_i16_sdwa v23, sext(v23) dst_sel:DWORD dst_unused:UNUSED_PAD src0_sel:BYTE_0
	v_pk_mul_f16 v26, v26, v22
	v_cvt_f16_i16_sdwa v27, sext(v27) dst_sel:DWORD dst_unused:UNUSED_PAD src0_sel:BYTE_0
	v_pk_fma_f16 v26, v26, v31, v30
	v_pack_b32_f16 v23, v23, v27
	v_mul_u32_u24_sdwa v30, v25, v80 dst_sel:DWORD dst_unused:UNUSED_PAD src0_sel:WORD_1 src1_sel:DWORD
	v_pk_mul_f16 v22, v23, v22
	v_pk_fma_f16 v27, v22, v31, v24
	v_add_co_u32 v31, vcc_lo, s13, v112
	v_add_co_ci_u32_e64 v32, null, s19, v134, vcc_lo
	v_add_co_u32 v22, vcc_lo, v31, v147
	v_add_co_ci_u32_e64 v23, null, v32, v145, vcc_lo
	;; [unrolled: 2-line block ×3, first 2 shown]
	s_clause 0x1
	global_load_ushort v22, v[22:23], off
	global_load_dword v23, v[24:25], off offset:2
	s_waitcnt vmcnt(1)
	v_mul_u32_u24_e32 v22, 0x10001, v22
	s_waitcnt vmcnt(0)
	v_pk_lshrrev_b16 v24, 8, v23 op_sel:[1,0] op_sel_hi:[0,0]
	v_pk_lshrrev_b16 v23, 8, v23 op_sel:[1,1] op_sel_hi:[0,1]
	v_lshrrev_b32_e32 v25, 16, v24
	v_cvt_f16_i16_sdwa v24, sext(v24) dst_sel:DWORD dst_unused:UNUSED_PAD src0_sel:BYTE_0
	v_cvt_f16_i16_sdwa v25, sext(v25) dst_sel:DWORD dst_unused:UNUSED_PAD src0_sel:BYTE_0
	v_pack_b32_f16 v24, v24, v25
	v_lshrrev_b32_e32 v25, 16, v23
	v_cvt_f16_i16_sdwa v23, sext(v23) dst_sel:DWORD dst_unused:UNUSED_PAD src0_sel:BYTE_0
	v_pk_mul_f16 v24, v24, v22
	v_cvt_f16_i16_sdwa v25, sext(v25) dst_sel:DWORD dst_unused:UNUSED_PAD src0_sel:BYTE_0
	v_pk_fma_f16 v28, v24, v30, v28
	v_pack_b32_f16 v23, v23, v25
	v_pk_mul_f16 v22, v23, v22
	v_pk_fma_f16 v29, v22, v30, v29
	v_add_co_u32 v22, vcc_lo, v31, v148
	v_add_co_ci_u32_e64 v23, null, v32, v146, vcc_lo
	v_add_co_u32 v24, vcc_lo, v22, v86
	v_add_co_ci_u32_e64 v25, null, 0, v23, vcc_lo
	global_load_ushort v22, v[22:23], off
	v_add_co_u32 v31, vcc_lo, s13, v113
	global_load_dword v23, v[24:25], off offset:2
	v_add_co_ci_u32_e64 v32, null, s19, v135, vcc_lo
	s_waitcnt vmcnt(1)
	v_mul_u32_u24_e32 v22, 0x10001, v22
	s_waitcnt vmcnt(0)
	v_pk_lshrrev_b16 v24, 8, v23 op_sel:[1,0] op_sel_hi:[0,0]
	v_pk_lshrrev_b16 v23, 8, v23 op_sel:[1,1] op_sel_hi:[0,1]
	v_lshrrev_b32_e32 v25, 16, v24
	v_cvt_f16_i16_sdwa v24, sext(v24) dst_sel:DWORD dst_unused:UNUSED_PAD src0_sel:BYTE_0
	v_cvt_f16_i16_sdwa v25, sext(v25) dst_sel:DWORD dst_unused:UNUSED_PAD src0_sel:BYTE_0
	v_pack_b32_f16 v24, v24, v25
	v_lshrrev_b32_e32 v25, 16, v23
	v_cvt_f16_i16_sdwa v23, sext(v23) dst_sel:DWORD dst_unused:UNUSED_PAD src0_sel:BYTE_0
	v_pk_mul_f16 v24, v24, v22
	v_cvt_f16_i16_sdwa v25, sext(v25) dst_sel:DWORD dst_unused:UNUSED_PAD src0_sel:BYTE_0
	v_pk_fma_f16 v26, v24, v30, v26
	v_pack_b32_f16 v23, v23, v25
	v_pk_mul_f16 v22, v23, v22
	v_pk_fma_f16 v27, v22, v30, v27
	v_add_co_u32 v22, vcc_lo, v31, v147
	v_add_co_ci_u32_e64 v23, null, v32, v145, vcc_lo
	s_waitcnt lgkmcnt(0)
	v_mul_u32_u24_sdwa v30, v18, v80 dst_sel:DWORD dst_unused:UNUSED_PAD src0_sel:WORD_0 src1_sel:DWORD
	v_add_co_u32 v24, vcc_lo, v22, v78
	v_add_co_ci_u32_e64 v25, null, 0, v23, vcc_lo
	global_load_ushort v22, v[22:23], off
	v_mul_u32_u24_sdwa v18, v18, v80 dst_sel:DWORD dst_unused:UNUSED_PAD src0_sel:WORD_1 src1_sel:DWORD
	global_load_dword v23, v[24:25], off offset:2
	s_waitcnt vmcnt(1)
	v_mul_u32_u24_e32 v22, 0x10001, v22
	s_waitcnt vmcnt(0)
	v_pk_lshrrev_b16 v24, 8, v23 op_sel:[1,0] op_sel_hi:[0,0]
	v_pk_lshrrev_b16 v23, 8, v23 op_sel:[1,1] op_sel_hi:[0,1]
	v_lshrrev_b32_e32 v25, 16, v24
	v_cvt_f16_i16_sdwa v24, sext(v24) dst_sel:DWORD dst_unused:UNUSED_PAD src0_sel:BYTE_0
	v_cvt_f16_i16_sdwa v25, sext(v25) dst_sel:DWORD dst_unused:UNUSED_PAD src0_sel:BYTE_0
	v_pack_b32_f16 v24, v24, v25
	v_lshrrev_b32_e32 v25, 16, v23
	v_cvt_f16_i16_sdwa v23, sext(v23) dst_sel:DWORD dst_unused:UNUSED_PAD src0_sel:BYTE_0
	v_pk_mul_f16 v24, v24, v22
	v_cvt_f16_i16_sdwa v25, sext(v25) dst_sel:DWORD dst_unused:UNUSED_PAD src0_sel:BYTE_0
	v_pk_fma_f16 v28, v24, v30, v28
	v_pack_b32_f16 v23, v23, v25
	v_pk_mul_f16 v22, v23, v22
	v_pk_fma_f16 v29, v22, v30, v29
	v_add_co_u32 v22, vcc_lo, v31, v148
	v_add_co_ci_u32_e64 v23, null, v32, v146, vcc_lo
	v_add_co_u32 v24, vcc_lo, v22, v86
	v_add_co_ci_u32_e64 v25, null, 0, v23, vcc_lo
	s_clause 0x1
	global_load_ushort v22, v[22:23], off
	global_load_dword v23, v[24:25], off offset:2
	s_waitcnt vmcnt(1)
	v_mul_u32_u24_e32 v22, 0x10001, v22
	s_waitcnt vmcnt(0)
	v_pk_lshrrev_b16 v24, 8, v23 op_sel:[1,0] op_sel_hi:[0,0]
	v_pk_lshrrev_b16 v23, 8, v23 op_sel:[1,1] op_sel_hi:[0,1]
	v_lshrrev_b32_e32 v25, 16, v24
	v_cvt_f16_i16_sdwa v24, sext(v24) dst_sel:DWORD dst_unused:UNUSED_PAD src0_sel:BYTE_0
	v_cvt_f16_i16_sdwa v25, sext(v25) dst_sel:DWORD dst_unused:UNUSED_PAD src0_sel:BYTE_0
	v_pack_b32_f16 v24, v24, v25
	v_lshrrev_b32_e32 v25, 16, v23
	v_cvt_f16_i16_sdwa v23, sext(v23) dst_sel:DWORD dst_unused:UNUSED_PAD src0_sel:BYTE_0
	v_pk_mul_f16 v24, v24, v22
	v_cvt_f16_i16_sdwa v25, sext(v25) dst_sel:DWORD dst_unused:UNUSED_PAD src0_sel:BYTE_0
	v_pk_fma_f16 v26, v24, v30, v26
	v_pack_b32_f16 v23, v23, v25
	v_pk_mul_f16 v22, v23, v22
	v_pk_fma_f16 v27, v22, v30, v27
	v_add_co_u32 v30, vcc_lo, s13, v116
	v_add_co_ci_u32_e64 v31, null, s19, v136, vcc_lo
	v_add_co_u32 v22, vcc_lo, v30, v147
	v_add_co_ci_u32_e64 v23, null, v31, v145, vcc_lo
	;; [unrolled: 2-line block ×3, first 2 shown]
	s_clause 0x1
	global_load_ushort v22, v[22:23], off
	global_load_dword v23, v[24:25], off offset:2
	s_waitcnt vmcnt(1)
	v_mul_u32_u24_e32 v22, 0x10001, v22
	s_waitcnt vmcnt(0)
	v_pk_lshrrev_b16 v24, 8, v23 op_sel:[1,0] op_sel_hi:[0,0]
	v_pk_lshrrev_b16 v23, 8, v23 op_sel:[1,1] op_sel_hi:[0,1]
	v_lshrrev_b32_e32 v25, 16, v24
	v_cvt_f16_i16_sdwa v24, sext(v24) dst_sel:DWORD dst_unused:UNUSED_PAD src0_sel:BYTE_0
	v_cvt_f16_i16_sdwa v25, sext(v25) dst_sel:DWORD dst_unused:UNUSED_PAD src0_sel:BYTE_0
	v_pack_b32_f16 v24, v24, v25
	v_lshrrev_b32_e32 v25, 16, v23
	v_cvt_f16_i16_sdwa v23, sext(v23) dst_sel:DWORD dst_unused:UNUSED_PAD src0_sel:BYTE_0
	v_pk_mul_f16 v24, v24, v22
	v_cvt_f16_i16_sdwa v25, sext(v25) dst_sel:DWORD dst_unused:UNUSED_PAD src0_sel:BYTE_0
	v_pk_fma_f16 v28, v24, v18, v28
	v_pack_b32_f16 v23, v23, v25
	v_pk_mul_f16 v22, v23, v22
	v_pk_fma_f16 v29, v22, v18, v29
	v_add_co_u32 v22, vcc_lo, v30, v148
	v_add_co_ci_u32_e64 v23, null, v31, v146, vcc_lo
	v_add_co_u32 v24, vcc_lo, v22, v86
	v_add_co_ci_u32_e64 v25, null, 0, v23, vcc_lo
	global_load_ushort v22, v[22:23], off
	v_add_co_u32 v30, vcc_lo, s13, v117
	global_load_dword v23, v[24:25], off offset:2
	v_add_co_ci_u32_e64 v31, null, s19, v137, vcc_lo
	s_waitcnt vmcnt(1)
	v_mul_u32_u24_e32 v22, 0x10001, v22
	s_waitcnt vmcnt(0)
	v_pk_lshrrev_b16 v24, 8, v23 op_sel:[1,0] op_sel_hi:[0,0]
	v_pk_lshrrev_b16 v23, 8, v23 op_sel:[1,1] op_sel_hi:[0,1]
	v_lshrrev_b32_e32 v25, 16, v24
	v_cvt_f16_i16_sdwa v24, sext(v24) dst_sel:DWORD dst_unused:UNUSED_PAD src0_sel:BYTE_0
	v_cvt_f16_i16_sdwa v25, sext(v25) dst_sel:DWORD dst_unused:UNUSED_PAD src0_sel:BYTE_0
	v_pack_b32_f16 v24, v24, v25
	v_lshrrev_b32_e32 v25, 16, v23
	v_cvt_f16_i16_sdwa v23, sext(v23) dst_sel:DWORD dst_unused:UNUSED_PAD src0_sel:BYTE_0
	v_pk_mul_f16 v24, v24, v22
	v_cvt_f16_i16_sdwa v25, sext(v25) dst_sel:DWORD dst_unused:UNUSED_PAD src0_sel:BYTE_0
	v_pk_fma_f16 v26, v24, v18, v26
	v_pack_b32_f16 v23, v23, v25
	v_pk_mul_f16 v22, v23, v22
	v_pk_fma_f16 v18, v22, v18, v27
	v_add_co_u32 v22, vcc_lo, v30, v147
	v_add_co_ci_u32_e64 v23, null, v31, v145, vcc_lo
	v_mul_u32_u24_sdwa v27, v19, v80 dst_sel:DWORD dst_unused:UNUSED_PAD src0_sel:WORD_0 src1_sel:DWORD
	v_add_co_u32 v24, vcc_lo, v22, v78
	v_add_co_ci_u32_e64 v25, null, 0, v23, vcc_lo
	s_clause 0x1
	global_load_ushort v22, v[22:23], off
	global_load_dword v23, v[24:25], off offset:2
	s_waitcnt vmcnt(1)
	v_mul_u32_u24_e32 v22, 0x10001, v22
	s_waitcnt vmcnt(0)
	v_pk_lshrrev_b16 v24, 8, v23 op_sel:[1,0] op_sel_hi:[0,0]
	v_pk_lshrrev_b16 v23, 8, v23 op_sel:[1,1] op_sel_hi:[0,1]
	v_lshrrev_b32_e32 v25, 16, v24
	v_cvt_f16_i16_sdwa v24, sext(v24) dst_sel:DWORD dst_unused:UNUSED_PAD src0_sel:BYTE_0
	v_cvt_f16_i16_sdwa v25, sext(v25) dst_sel:DWORD dst_unused:UNUSED_PAD src0_sel:BYTE_0
	v_pack_b32_f16 v24, v24, v25
	v_lshrrev_b32_e32 v25, 16, v23
	v_cvt_f16_i16_sdwa v23, sext(v23) dst_sel:DWORD dst_unused:UNUSED_PAD src0_sel:BYTE_0
	v_pk_mul_f16 v24, v24, v22
	v_cvt_f16_i16_sdwa v25, sext(v25) dst_sel:DWORD dst_unused:UNUSED_PAD src0_sel:BYTE_0
	v_pk_fma_f16 v28, v24, v27, v28
	v_pack_b32_f16 v23, v23, v25
	v_pk_mul_f16 v22, v23, v22
	v_pk_fma_f16 v29, v22, v27, v29
	v_add_co_u32 v22, vcc_lo, v30, v148
	v_add_co_ci_u32_e64 v23, null, v31, v146, vcc_lo
	v_add_co_u32 v24, vcc_lo, v22, v86
	v_add_co_ci_u32_e64 v25, null, 0, v23, vcc_lo
	s_clause 0x1
	global_load_ushort v22, v[22:23], off
	global_load_dword v23, v[24:25], off offset:2
	s_waitcnt vmcnt(1)
	v_mul_u32_u24_e32 v22, 0x10001, v22
	s_waitcnt vmcnt(0)
	v_pk_lshrrev_b16 v24, 8, v23 op_sel:[1,0] op_sel_hi:[0,0]
	v_pk_lshrrev_b16 v23, 8, v23 op_sel:[1,1] op_sel_hi:[0,1]
	v_lshrrev_b32_e32 v25, 16, v24
	v_cvt_f16_i16_sdwa v24, sext(v24) dst_sel:DWORD dst_unused:UNUSED_PAD src0_sel:BYTE_0
	v_cvt_f16_i16_sdwa v25, sext(v25) dst_sel:DWORD dst_unused:UNUSED_PAD src0_sel:BYTE_0
	v_pack_b32_f16 v24, v24, v25
	v_lshrrev_b32_e32 v25, 16, v23
	v_cvt_f16_i16_sdwa v23, sext(v23) dst_sel:DWORD dst_unused:UNUSED_PAD src0_sel:BYTE_0
	v_pk_mul_f16 v24, v24, v22
	v_cvt_f16_i16_sdwa v25, sext(v25) dst_sel:DWORD dst_unused:UNUSED_PAD src0_sel:BYTE_0
	v_pk_fma_f16 v24, v24, v27, v26
	v_pack_b32_f16 v23, v23, v25
	v_mul_u32_u24_sdwa v26, v19, v80 dst_sel:DWORD dst_unused:UNUSED_PAD src0_sel:WORD_1 src1_sel:DWORD
	v_pk_mul_f16 v22, v23, v22
	v_pk_fma_f16 v25, v22, v27, v18
	v_add_co_u32 v27, vcc_lo, s13, v119
	v_add_co_ci_u32_e64 v30, null, s19, v139, vcc_lo
	v_add_co_u32 v18, vcc_lo, v27, v147
	v_add_co_ci_u32_e64 v19, null, v30, v145, vcc_lo
	;; [unrolled: 2-line block ×3, first 2 shown]
	s_clause 0x1
	global_load_ushort v18, v[18:19], off
	global_load_dword v19, v[22:23], off offset:2
	s_waitcnt vmcnt(1)
	v_mul_u32_u24_e32 v18, 0x10001, v18
	s_waitcnt vmcnt(0)
	v_pk_lshrrev_b16 v22, 8, v19 op_sel:[1,0] op_sel_hi:[0,0]
	v_pk_lshrrev_b16 v19, 8, v19 op_sel:[1,1] op_sel_hi:[0,1]
	v_lshrrev_b32_e32 v23, 16, v22
	v_cvt_f16_i16_sdwa v22, sext(v22) dst_sel:DWORD dst_unused:UNUSED_PAD src0_sel:BYTE_0
	v_cvt_f16_i16_sdwa v23, sext(v23) dst_sel:DWORD dst_unused:UNUSED_PAD src0_sel:BYTE_0
	v_pack_b32_f16 v22, v22, v23
	v_lshrrev_b32_e32 v23, 16, v19
	v_cvt_f16_i16_sdwa v19, sext(v19) dst_sel:DWORD dst_unused:UNUSED_PAD src0_sel:BYTE_0
	v_pk_mul_f16 v22, v22, v18
	v_cvt_f16_i16_sdwa v23, sext(v23) dst_sel:DWORD dst_unused:UNUSED_PAD src0_sel:BYTE_0
	v_pk_fma_f16 v28, v22, v26, v28
	v_pack_b32_f16 v19, v19, v23
	v_pk_mul_f16 v18, v19, v18
	v_pk_fma_f16 v29, v18, v26, v29
	v_add_co_u32 v18, vcc_lo, v27, v148
	v_add_co_ci_u32_e64 v19, null, v30, v146, vcc_lo
	v_add_co_u32 v22, vcc_lo, v18, v86
	v_add_co_ci_u32_e64 v23, null, 0, v19, vcc_lo
	global_load_ushort v18, v[18:19], off
	v_add_co_u32 v27, vcc_lo, s13, v123
	global_load_dword v19, v[22:23], off offset:2
	v_add_co_ci_u32_e64 v30, null, s19, v140, vcc_lo
	s_waitcnt vmcnt(1)
	v_mul_u32_u24_e32 v18, 0x10001, v18
	s_waitcnt vmcnt(0)
	v_pk_lshrrev_b16 v22, 8, v19 op_sel:[1,0] op_sel_hi:[0,0]
	v_pk_lshrrev_b16 v19, 8, v19 op_sel:[1,1] op_sel_hi:[0,1]
	v_lshrrev_b32_e32 v23, 16, v22
	v_cvt_f16_i16_sdwa v22, sext(v22) dst_sel:DWORD dst_unused:UNUSED_PAD src0_sel:BYTE_0
	v_cvt_f16_i16_sdwa v23, sext(v23) dst_sel:DWORD dst_unused:UNUSED_PAD src0_sel:BYTE_0
	v_pack_b32_f16 v22, v22, v23
	v_lshrrev_b32_e32 v23, 16, v19
	v_cvt_f16_i16_sdwa v19, sext(v19) dst_sel:DWORD dst_unused:UNUSED_PAD src0_sel:BYTE_0
	v_pk_mul_f16 v22, v22, v18
	v_cvt_f16_i16_sdwa v23, sext(v23) dst_sel:DWORD dst_unused:UNUSED_PAD src0_sel:BYTE_0
	v_pk_fma_f16 v24, v22, v26, v24
	v_pack_b32_f16 v19, v19, v23
	v_pk_mul_f16 v18, v19, v18
	v_pk_fma_f16 v25, v18, v26, v25
	v_add_co_u32 v18, vcc_lo, v27, v147
	v_add_co_ci_u32_e64 v19, null, v30, v145, vcc_lo
	v_mul_u32_u24_sdwa v26, v20, v80 dst_sel:DWORD dst_unused:UNUSED_PAD src0_sel:WORD_0 src1_sel:DWORD
	v_add_co_u32 v22, vcc_lo, v18, v78
	v_add_co_ci_u32_e64 v23, null, 0, v19, vcc_lo
	global_load_ushort v18, v[18:19], off
	v_mul_u32_u24_sdwa v20, v20, v80 dst_sel:DWORD dst_unused:UNUSED_PAD src0_sel:WORD_1 src1_sel:DWORD
	global_load_dword v19, v[22:23], off offset:2
	s_waitcnt vmcnt(1)
	v_mul_u32_u24_e32 v18, 0x10001, v18
	s_waitcnt vmcnt(0)
	v_pk_lshrrev_b16 v22, 8, v19 op_sel:[1,0] op_sel_hi:[0,0]
	v_pk_lshrrev_b16 v19, 8, v19 op_sel:[1,1] op_sel_hi:[0,1]
	v_lshrrev_b32_e32 v23, 16, v22
	v_cvt_f16_i16_sdwa v22, sext(v22) dst_sel:DWORD dst_unused:UNUSED_PAD src0_sel:BYTE_0
	v_cvt_f16_i16_sdwa v23, sext(v23) dst_sel:DWORD dst_unused:UNUSED_PAD src0_sel:BYTE_0
	v_pack_b32_f16 v22, v22, v23
	v_lshrrev_b32_e32 v23, 16, v19
	v_cvt_f16_i16_sdwa v19, sext(v19) dst_sel:DWORD dst_unused:UNUSED_PAD src0_sel:BYTE_0
	v_pk_mul_f16 v22, v22, v18
	v_cvt_f16_i16_sdwa v23, sext(v23) dst_sel:DWORD dst_unused:UNUSED_PAD src0_sel:BYTE_0
	v_pk_fma_f16 v28, v22, v26, v28
	v_pack_b32_f16 v19, v19, v23
	v_pk_mul_f16 v18, v19, v18
	v_pk_fma_f16 v29, v18, v26, v29
	v_add_co_u32 v18, vcc_lo, v27, v148
	v_add_co_ci_u32_e64 v19, null, v30, v146, vcc_lo
	v_add_co_u32 v22, vcc_lo, v18, v86
	v_add_co_ci_u32_e64 v23, null, 0, v19, vcc_lo
	s_clause 0x1
	global_load_ushort v18, v[18:19], off
	global_load_dword v19, v[22:23], off offset:2
	s_waitcnt vmcnt(1)
	v_mul_u32_u24_e32 v18, 0x10001, v18
	s_waitcnt vmcnt(0)
	v_pk_lshrrev_b16 v22, 8, v19 op_sel:[1,0] op_sel_hi:[0,0]
	v_pk_lshrrev_b16 v19, 8, v19 op_sel:[1,1] op_sel_hi:[0,1]
	v_lshrrev_b32_e32 v23, 16, v22
	v_cvt_f16_i16_sdwa v22, sext(v22) dst_sel:DWORD dst_unused:UNUSED_PAD src0_sel:BYTE_0
	v_cvt_f16_i16_sdwa v23, sext(v23) dst_sel:DWORD dst_unused:UNUSED_PAD src0_sel:BYTE_0
	v_pack_b32_f16 v22, v22, v23
	v_lshrrev_b32_e32 v23, 16, v19
	v_cvt_f16_i16_sdwa v19, sext(v19) dst_sel:DWORD dst_unused:UNUSED_PAD src0_sel:BYTE_0
	v_pk_mul_f16 v22, v22, v18
	v_cvt_f16_i16_sdwa v23, sext(v23) dst_sel:DWORD dst_unused:UNUSED_PAD src0_sel:BYTE_0
	v_pk_fma_f16 v24, v22, v26, v24
	v_pack_b32_f16 v19, v19, v23
	v_pk_mul_f16 v18, v19, v18
	v_pk_fma_f16 v25, v18, v26, v25
	v_add_co_u32 v26, vcc_lo, s13, v128
	v_add_co_ci_u32_e64 v27, null, s19, v141, vcc_lo
	v_add_co_u32 v18, vcc_lo, v26, v147
	v_add_co_ci_u32_e64 v19, null, v27, v145, vcc_lo
	;; [unrolled: 2-line block ×3, first 2 shown]
	s_clause 0x1
	global_load_ushort v18, v[18:19], off
	global_load_dword v19, v[22:23], off offset:2
	s_waitcnt vmcnt(1)
	v_mul_u32_u24_e32 v18, 0x10001, v18
	s_waitcnt vmcnt(0)
	v_pk_lshrrev_b16 v22, 8, v19 op_sel:[1,0] op_sel_hi:[0,0]
	v_pk_lshrrev_b16 v19, 8, v19 op_sel:[1,1] op_sel_hi:[0,1]
	v_lshrrev_b32_e32 v23, 16, v22
	v_cvt_f16_i16_sdwa v22, sext(v22) dst_sel:DWORD dst_unused:UNUSED_PAD src0_sel:BYTE_0
	v_cvt_f16_i16_sdwa v23, sext(v23) dst_sel:DWORD dst_unused:UNUSED_PAD src0_sel:BYTE_0
	v_pack_b32_f16 v22, v22, v23
	v_lshrrev_b32_e32 v23, 16, v19
	v_cvt_f16_i16_sdwa v19, sext(v19) dst_sel:DWORD dst_unused:UNUSED_PAD src0_sel:BYTE_0
	v_pk_mul_f16 v22, v22, v18
	v_cvt_f16_i16_sdwa v23, sext(v23) dst_sel:DWORD dst_unused:UNUSED_PAD src0_sel:BYTE_0
	v_pk_fma_f16 v28, v22, v20, v28
	v_pack_b32_f16 v19, v19, v23
	v_pk_mul_f16 v18, v19, v18
	v_pk_fma_f16 v29, v18, v20, v29
	v_add_co_u32 v18, vcc_lo, v26, v148
	v_add_co_ci_u32_e64 v19, null, v27, v146, vcc_lo
	v_add_co_u32 v22, vcc_lo, v18, v86
	v_add_co_ci_u32_e64 v23, null, 0, v19, vcc_lo
	global_load_ushort v18, v[18:19], off
	v_add_co_u32 v26, vcc_lo, s13, v133
	global_load_dword v19, v[22:23], off offset:2
	v_add_co_ci_u32_e64 v27, null, s19, v142, vcc_lo
	s_waitcnt vmcnt(1)
	v_mul_u32_u24_e32 v18, 0x10001, v18
	s_waitcnt vmcnt(0)
	v_pk_lshrrev_b16 v22, 8, v19 op_sel:[1,0] op_sel_hi:[0,0]
	v_pk_lshrrev_b16 v19, 8, v19 op_sel:[1,1] op_sel_hi:[0,1]
	v_lshrrev_b32_e32 v23, 16, v22
	v_cvt_f16_i16_sdwa v22, sext(v22) dst_sel:DWORD dst_unused:UNUSED_PAD src0_sel:BYTE_0
	v_cvt_f16_i16_sdwa v23, sext(v23) dst_sel:DWORD dst_unused:UNUSED_PAD src0_sel:BYTE_0
	v_pack_b32_f16 v22, v22, v23
	v_lshrrev_b32_e32 v23, 16, v19
	v_cvt_f16_i16_sdwa v19, sext(v19) dst_sel:DWORD dst_unused:UNUSED_PAD src0_sel:BYTE_0
	v_pk_mul_f16 v22, v22, v18
	v_cvt_f16_i16_sdwa v23, sext(v23) dst_sel:DWORD dst_unused:UNUSED_PAD src0_sel:BYTE_0
	v_pk_fma_f16 v24, v22, v20, v24
	v_pack_b32_f16 v19, v19, v23
	v_pk_mul_f16 v18, v19, v18
	v_pk_fma_f16 v20, v18, v20, v25
	v_add_co_u32 v18, vcc_lo, v26, v147
	v_add_co_ci_u32_e64 v19, null, v27, v145, vcc_lo
	v_mul_u32_u24_sdwa v25, v21, v80 dst_sel:DWORD dst_unused:UNUSED_PAD src0_sel:WORD_0 src1_sel:DWORD
	v_add_co_u32 v22, vcc_lo, v18, v78
	v_add_co_ci_u32_e64 v23, null, 0, v19, vcc_lo
	s_clause 0x1
	global_load_ushort v18, v[18:19], off
	global_load_dword v19, v[22:23], off offset:2
	s_waitcnt vmcnt(1)
	v_mul_u32_u24_e32 v18, 0x10001, v18
	s_waitcnt vmcnt(0)
	v_pk_lshrrev_b16 v22, 8, v19 op_sel:[1,0] op_sel_hi:[0,0]
	v_pk_lshrrev_b16 v19, 8, v19 op_sel:[1,1] op_sel_hi:[0,1]
	v_lshrrev_b32_e32 v23, 16, v22
	v_cvt_f16_i16_sdwa v22, sext(v22) dst_sel:DWORD dst_unused:UNUSED_PAD src0_sel:BYTE_0
	v_cvt_f16_i16_sdwa v23, sext(v23) dst_sel:DWORD dst_unused:UNUSED_PAD src0_sel:BYTE_0
	v_pack_b32_f16 v22, v22, v23
	v_lshrrev_b32_e32 v23, 16, v19
	v_cvt_f16_i16_sdwa v19, sext(v19) dst_sel:DWORD dst_unused:UNUSED_PAD src0_sel:BYTE_0
	v_pk_mul_f16 v22, v22, v18
	v_cvt_f16_i16_sdwa v23, sext(v23) dst_sel:DWORD dst_unused:UNUSED_PAD src0_sel:BYTE_0
	v_pk_fma_f16 v28, v22, v25, v28
	v_pack_b32_f16 v19, v19, v23
	v_pk_mul_f16 v18, v19, v18
	v_pk_fma_f16 v29, v18, v25, v29
	v_add_co_u32 v18, vcc_lo, v26, v148
	v_add_co_ci_u32_e64 v19, null, v27, v146, vcc_lo
	v_add_co_u32 v22, vcc_lo, v18, v86
	v_add_co_ci_u32_e64 v23, null, 0, v19, vcc_lo
	global_load_ushort v18, v[18:19], off
	v_add_co_u32 v26, vcc_lo, s13, v138
	global_load_dword v19, v[22:23], off offset:2
	v_add_co_ci_u32_e64 v27, null, s19, v143, vcc_lo
	s_add_u32 s13, s13, s18
	s_addc_u32 s19, s19, 0
	s_add_u32 s3, s3, s10
	s_addc_u32 s12, s12, s11
	s_cmp_ge_i32 s2, s34
	s_waitcnt vmcnt(1)
	v_mul_u32_u24_e32 v18, 0x10001, v18
	s_waitcnt vmcnt(0)
	v_pk_lshrrev_b16 v22, 8, v19 op_sel:[1,0] op_sel_hi:[0,0]
	v_pk_lshrrev_b16 v19, 8, v19 op_sel:[1,1] op_sel_hi:[0,1]
	v_lshrrev_b32_e32 v23, 16, v22
	v_cvt_f16_i16_sdwa v22, sext(v22) dst_sel:DWORD dst_unused:UNUSED_PAD src0_sel:BYTE_0
	v_cvt_f16_i16_sdwa v23, sext(v23) dst_sel:DWORD dst_unused:UNUSED_PAD src0_sel:BYTE_0
	v_pack_b32_f16 v22, v22, v23
	v_lshrrev_b32_e32 v23, 16, v19
	v_cvt_f16_i16_sdwa v19, sext(v19) dst_sel:DWORD dst_unused:UNUSED_PAD src0_sel:BYTE_0
	v_pk_mul_f16 v22, v22, v18
	v_cvt_f16_i16_sdwa v23, sext(v23) dst_sel:DWORD dst_unused:UNUSED_PAD src0_sel:BYTE_0
	v_pack_b32_f16 v19, v19, v23
	v_pk_mul_f16 v19, v19, v18
	v_pk_fma_f16 v18, v22, v25, v24
	v_pk_fma_f16 v19, v19, v25, v20
	v_mul_u32_u24_sdwa v20, v21, v80 dst_sel:DWORD dst_unused:UNUSED_PAD src0_sel:WORD_1 src1_sel:DWORD
	v_add_co_u32 v21, vcc_lo, v26, v147
	v_add_co_ci_u32_e64 v22, null, v27, v145, vcc_lo
	v_add_co_u32 v23, vcc_lo, v21, v78
	v_add_co_ci_u32_e64 v24, null, 0, v22, vcc_lo
	s_clause 0x1
	global_load_ushort v21, v[21:22], off
	global_load_dword v22, v[23:24], off offset:2
	s_waitcnt vmcnt(1)
	v_mul_u32_u24_e32 v21, 0x10001, v21
	s_waitcnt vmcnt(0)
	v_pk_lshrrev_b16 v23, 8, v22 op_sel:[1,0] op_sel_hi:[0,0]
	v_pk_lshrrev_b16 v22, 8, v22 op_sel:[1,1] op_sel_hi:[0,1]
	v_lshrrev_b32_e32 v24, 16, v23
	v_cvt_f16_i16_sdwa v23, sext(v23) dst_sel:DWORD dst_unused:UNUSED_PAD src0_sel:BYTE_0
	v_cvt_f16_i16_sdwa v24, sext(v24) dst_sel:DWORD dst_unused:UNUSED_PAD src0_sel:BYTE_0
	v_pack_b32_f16 v23, v23, v24
	v_lshrrev_b32_e32 v24, 16, v22
	v_cvt_f16_i16_sdwa v22, sext(v22) dst_sel:DWORD dst_unused:UNUSED_PAD src0_sel:BYTE_0
	v_pk_mul_f16 v23, v23, v21
	v_cvt_f16_i16_sdwa v24, sext(v24) dst_sel:DWORD dst_unused:UNUSED_PAD src0_sel:BYTE_0
	v_pk_fma_f16 v25, v23, v20, v28
	v_pack_b32_f16 v22, v22, v24
	v_pk_mul_f16 v21, v22, v21
	v_pk_fma_f16 v24, v21, v20, v29
	v_add_co_u32 v21, vcc_lo, v26, v148
	v_add_co_ci_u32_e64 v22, null, v27, v146, vcc_lo
	v_add_co_u32 v26, vcc_lo, v21, v86
	v_add_co_ci_u32_e64 v27, null, 0, v22, vcc_lo
	s_clause 0x1
	global_load_ushort v21, v[21:22], off
	global_load_dword v22, v[26:27], off offset:2
	s_waitcnt vmcnt(1)
	v_mul_u32_u24_e32 v21, 0x10001, v21
	s_waitcnt vmcnt(0)
	v_pk_lshrrev_b16 v23, 8, v22 op_sel:[1,0] op_sel_hi:[0,0]
	v_pk_lshrrev_b16 v22, 8, v22 op_sel:[1,1] op_sel_hi:[0,1]
	v_lshrrev_b32_e32 v26, 16, v23
	v_cvt_f16_i16_sdwa v23, sext(v23) dst_sel:DWORD dst_unused:UNUSED_PAD src0_sel:BYTE_0
	v_cvt_f16_i16_sdwa v26, sext(v26) dst_sel:DWORD dst_unused:UNUSED_PAD src0_sel:BYTE_0
	v_pack_b32_f16 v23, v23, v26
	v_lshrrev_b32_e32 v26, 16, v22
	v_cvt_f16_i16_sdwa v22, sext(v22) dst_sel:DWORD dst_unused:UNUSED_PAD src0_sel:BYTE_0
	v_pk_mul_f16 v23, v23, v21
	v_cvt_f16_i16_sdwa v26, sext(v26) dst_sel:DWORD dst_unused:UNUSED_PAD src0_sel:BYTE_0
	v_pk_fma_f16 v27, v23, v20, v18
	v_pack_b32_f16 v22, v22, v26
	v_pk_mul_f16 v21, v22, v21
	v_pk_fma_f16 v26, v21, v20, v19
	s_cbranch_scc1 .LBB27_30
; %bb.28:                               ;   in Loop: Header=BB27_15 Depth=1
	v_mov_b32_e32 v28, v144
	s_branch .LBB27_15
.LBB27_29:
	v_mov_b32_e32 v25, 0
	v_mov_b32_e32 v144, 0xfeffffff
	;; [unrolled: 1-line block ×5, first 2 shown]
.LBB27_30:
	v_or_b32_e32 v2, s7, v1
	s_cmp_lg_u64 s[16:17], 0
	s_cselect_b32 s1, -1, 0
	v_cmp_eq_u32_e32 vcc_lo, 0, v2
	s_and_b32 s2, vcc_lo, s1
	s_and_saveexec_b32 s1, s2
	s_cbranch_execz .LBB27_32
; %bb.31:
	s_lshl_b64 s[2:3], s[30:31], 2
	v_max_f32_e32 v2, v144, v144
	s_add_u32 s2, s16, s2
	s_addc_u32 s3, s17, s3
	s_load_dword s2, s[2:3], 0x0
	s_waitcnt lgkmcnt(0)
	v_max_f32_e64 v3, s2, s2
	v_max_f32_e32 v2, v2, v3
	v_sub_f32_e32 v3, v144, v2
	v_sub_f32_e32 v4, s2, v2
	v_mov_b32_e32 v144, v2
	v_mul_f32_e32 v5, 0x3fb8aa3b, v3
	v_mul_f32_e32 v6, 0x3fb8aa3b, v4
	v_cmp_ngt_f32_e32 vcc_lo, 0xc2ce8ed0, v3
	v_fma_f32 v7, 0x3fb8aa3b, v3, -v5
	v_rndne_f32_e32 v8, v5
	v_fma_f32 v9, 0x3fb8aa3b, v4, -v6
	v_rndne_f32_e32 v10, v6
	v_fmac_f32_e32 v7, 0x32a5705f, v3
	v_sub_f32_e32 v5, v5, v8
	v_fmac_f32_e32 v9, 0x32a5705f, v4
	v_sub_f32_e32 v6, v6, v10
	v_add_f32_e32 v5, v5, v7
	v_cvt_i32_f32_e32 v7, v8
	v_add_f32_e32 v6, v6, v9
	v_cvt_i32_f32_e32 v8, v10
	v_exp_f32_e32 v5, v5
	v_exp_f32_e32 v6, v6
	v_ldexp_f32 v5, v5, v7
	v_ldexp_f32 v6, v6, v8
	v_cndmask_b32_e32 v5, 0, v5, vcc_lo
	v_cmp_ngt_f32_e32 vcc_lo, 0xc2ce8ed0, v4
	v_cndmask_b32_e32 v6, 0, v6, vcc_lo
	v_cmp_nlt_f32_e32 vcc_lo, 0x42b17218, v3
	v_cndmask_b32_e32 v3, 0x7f800000, v5, vcc_lo
	v_cmp_nlt_f32_e32 vcc_lo, 0x42b17218, v4
	v_mov_b32_e32 v5, 0x10001
	v_cndmask_b32_e32 v4, 0x7f800000, v6, vcc_lo
	v_cmp_eq_u32_e32 vcc_lo, 0, v0
	v_cvt_f16_f32_e32 v6, v3
	v_cndmask_b32_e32 v4, 0, v4, vcc_lo
	v_mul_u32_u24_sdwa v5, v6, v5 dst_sel:DWORD dst_unused:UNUSED_PAD src0_sel:WORD_0 src1_sel:DWORD
	v_fmac_f32_e32 v4, v76, v3
	v_pk_mul_f16 v25, v25, v5
	v_pk_mul_f16 v24, v24, v5
	;; [unrolled: 1-line block ×4, first 2 shown]
	v_mov_b32_e32 v76, v4
.LBB27_32:
	s_or_b32 exec_lo, exec_lo, s1
	s_and_saveexec_b32 s1, s0
	s_cbranch_execz .LBB27_34
; %bb.33:
	v_mov_b32_e32 v2, 0xfeffffff
	v_mov_b32_e32 v3, 0
	v_add_nc_u32_e32 v4, 0x800, v70
	ds_write2_b32 v4, v2, v3 offset1:32
.LBB27_34:
	s_or_b32 exec_lo, exec_lo, s1
	v_cmp_eq_u32_e32 vcc_lo, 0, v0
	v_lshlrev_b32_e32 v4, 2, v1
	s_waitcnt lgkmcnt(0)
	s_barrier
	buffer_gl0_inv
	s_and_saveexec_b32 s0, vcc_lo
; %bb.35:
	ds_write_b32 v4, v144 offset:2048
; %bb.36:
	s_or_b32 exec_lo, exec_lo, s0
	s_waitcnt lgkmcnt(0)
	s_barrier
	buffer_gl0_inv
	ds_read_b32 v2, v70 offset:2048
	v_xor_b32_e32 v3, 16, v66
	v_xor_b32_e32 v6, 8, v66
	;; [unrolled: 1-line block ×5, first 2 shown]
	v_cmp_gt_i32_e64 s0, 32, v3
	s_load_dword s1, s[4:5], 0xd4
	v_lshlrev_b32_e32 v0, 3, v0
	v_cndmask_b32_e64 v3, v66, v3, s0
	v_cmp_gt_i32_e64 s0, 32, v6
	v_lshl_add_u32 v0, v1, 9, v0
	v_lshlrev_b32_e32 v5, 2, v3
	v_cndmask_b32_e64 v6, v66, v6, s0
	v_cmp_gt_i32_e64 s0, 32, v7
	s_waitcnt lgkmcnt(0)
	ds_bpermute_b32 v3, v5, v2
	v_max_f32_e32 v2, v2, v2
	v_lshlrev_b32_e32 v6, 2, v6
	v_cndmask_b32_e64 v7, v66, v7, s0
	v_cmp_gt_i32_e64 s0, 32, v8
	v_lshlrev_b32_e32 v7, 2, v7
	v_cndmask_b32_e64 v8, v66, v8, s0
	v_cmp_gt_i32_e64 s0, 32, v9
	v_lshlrev_b32_e32 v8, 2, v8
	v_cndmask_b32_e64 v9, v66, v9, s0
	s_waitcnt lgkmcnt(0)
	v_max_f32_e32 v3, v3, v3
	v_max_f32_e32 v2, v2, v3
	ds_bpermute_b32 v3, v6, v2
	s_waitcnt lgkmcnt(0)
	v_max_f32_e32 v3, v3, v3
	v_max_f32_e32 v2, v2, v3
	ds_bpermute_b32 v3, v7, v2
	;; [unrolled: 4-line block ×3, first 2 shown]
	s_waitcnt lgkmcnt(0)
	v_max_f32_e32 v10, v3, v3
	v_lshlrev_b32_e32 v3, 2, v9
	v_max_f32_e32 v2, v2, v10
	ds_bpermute_b32 v9, v3, v2
	s_waitcnt lgkmcnt(0)
	v_max_f32_e32 v9, v9, v9
	v_max_f32_e32 v2, v2, v9
	v_sub_f32_e32 v9, v144, v2
	v_mul_f32_e32 v10, 0x3fb8aa3b, v9
	v_cmp_ngt_f32_e64 s0, 0xc2ce8ed0, v9
	v_fma_f32 v11, 0x3fb8aa3b, v9, -v10
	v_rndne_f32_e32 v12, v10
	v_fmamk_f32 v11, v9, 0x32a5705f, v11
	v_sub_f32_e32 v10, v10, v12
	v_add_f32_e32 v10, v10, v11
	v_cvt_i32_f32_e32 v11, v12
	v_mov_b32_e32 v12, 0x10001
	v_exp_f32_e32 v10, v10
	v_ldexp_f32 v10, v10, v11
	v_cndmask_b32_e64 v10, 0, v10, s0
	v_cmp_nlt_f32_e64 s0, 0x42b17218, v9
	v_cndmask_b32_e64 v10, 0x7f800000, v10, s0
	v_mul_f32_e32 v9, v76, v10
	ds_bpermute_b32 v9, v5, v9
	s_waitcnt lgkmcnt(0)
	v_fmac_f32_e32 v9, v76, v10
	ds_bpermute_b32 v11, v6, v9
	s_waitcnt lgkmcnt(0)
	v_add_f32_e32 v9, v9, v11
	ds_bpermute_b32 v11, v7, v9
	s_waitcnt lgkmcnt(0)
	v_add_f32_e32 v9, v9, v11
	;; [unrolled: 3-line block ×3, first 2 shown]
	v_cvt_f16_f32_e32 v11, v10
	ds_bpermute_b32 v10, v3, v9
	v_mul_u32_u24_sdwa v14, v11, v12 dst_sel:DWORD dst_unused:UNUSED_PAD src0_sel:WORD_0 src1_sel:DWORD
	v_pk_mul_f16 v11, v25, v14
	v_pk_mul_f16 v12, v24, v14
	v_pk_mul_f16 v13, v27, v14
	v_pk_mul_f16 v14, v26, v14
	ds_write2_b64 v0, v[11:12], v[13:14] offset1:32
	s_and_saveexec_b32 s0, vcc_lo
	s_cbranch_execz .LBB27_38
; %bb.37:
	s_waitcnt lgkmcnt(1)
	v_add_f32_e32 v0, v9, v10
	ds_write_b32 v4, v0 offset:2176
.LBB27_38:
	s_or_b32 exec_lo, exec_lo, s0
	s_waitcnt lgkmcnt(0)
	s_barrier
	buffer_gl0_inv
	ds_read_b32 v0, v70 offset:2176
	s_mul_i32 s2, s33, s28
	s_mov_b32 s3, 0
	s_add_i32 s2, s2, s6
	s_mul_i32 s2, s2, s29
	s_add_i32 s2, s2, s30
	s_mul_i32 s2, s1, s2
	s_add_i32 s2, s2, s7
	s_cmp_eq_u32 s1, 1
	s_waitcnt lgkmcnt(0)
	ds_bpermute_b32 v1, v5, v0
	s_waitcnt lgkmcnt(0)
	v_add_f32_e32 v0, v0, v1
	ds_bpermute_b32 v1, v6, v0
	s_waitcnt lgkmcnt(0)
	v_add_f32_e32 v0, v0, v1
	;; [unrolled: 3-line block ×3, first 2 shown]
	ds_bpermute_b32 v1, v8, v0
	ds_read_u16 v4, v69
	ds_read_u16 v5, v69 offset:1792
	ds_read_u16 v6, v69 offset:1280
	;; [unrolled: 1-line block ×7, first 2 shown]
	s_waitcnt lgkmcnt(6)
	v_cvt_f32_f16_e32 v5, v5
	s_waitcnt lgkmcnt(5)
	v_cvt_f32_f16_e32 v6, v6
	;; [unrolled: 2-line block ×3, first 2 shown]
	v_add_f32_e32 v0, v0, v1
	v_cvt_f32_f16_e32 v1, v4
	s_waitcnt lgkmcnt(3)
	v_cvt_f32_f16_e32 v4, v8
	s_waitcnt lgkmcnt(2)
	;; [unrolled: 2-line block ×3, first 2 shown]
	v_cvt_f32_f16_e32 v9, v10
	ds_bpermute_b32 v3, v3, v0
	v_add_f32_e32 v1, 0, v1
	v_add_f32_e32 v4, 0, v4
	v_add_f32_e32 v1, v1, v8
	v_add_f32_e32 v4, v4, v7
	s_waitcnt lgkmcnt(1)
	v_cvt_f32_f16_e32 v7, v11
	v_add_f32_e32 v1, v1, v9
	v_add_f32_e32 v4, v4, v6
	;; [unrolled: 1-line block ×4, first 2 shown]
	s_waitcnt lgkmcnt(0)
	v_add_f32_e32 v3, v0, v3
	v_div_scale_f32 v0, null, v3, v3, v6
	v_div_scale_f32 v4, null, v3, v3, v7
	v_div_scale_f32 v10, vcc_lo, v6, v3, v6
	v_rcp_f32_e32 v5, v0
	v_rcp_f32_e32 v8, v4
	v_div_scale_f32 v11, s0, v7, v3, v7
	v_fma_f32 v1, -v0, v5, 1.0
	v_fma_f32 v9, -v4, v8, 1.0
	v_fmac_f32_e32 v5, v1, v5
	v_fmac_f32_e32 v8, v9, v8
	v_mul_f32_e32 v9, v10, v5
	v_mul_f32_e32 v12, v11, v8
	v_fma_f32 v1, -v0, v9, v10
	v_fma_f32 v13, -v4, v12, v11
	v_fmac_f32_e32 v9, v1, v5
	v_fmac_f32_e32 v12, v13, v8
	v_mov_b32_e32 v1, 0
	v_fma_f32 v10, -v0, v9, v10
	v_lshl_or_b32 v0, s2, 8, v68
	v_fma_f32 v4, -v4, v12, v11
	v_div_fmas_f32 v9, v10, v5, v9
	s_mov_b32 vcc_lo, s0
	v_div_fmas_f32 v8, v4, v8, v12
	v_lshlrev_b64 v[4:5], 2, v[0:1]
	v_div_fixup_f32 v0, v9, v3, v6
	v_cmp_eq_u32_e32 vcc_lo, 0, v68
	v_div_fixup_f32 v8, v8, v3, v7
	v_add_co_u32 v4, s0, s20, v4
	v_add_co_ci_u32_e64 v5, null, s21, v5, s0
	s_cselect_b32 s0, -1, 0
	s_cmp_lg_u32 s1, 1
	v_cndmask_b32_e64 v0, v6, v0, s0
	v_cndmask_b32_e64 v6, v7, v8, s0
	s_cselect_b32 s0, -1, 0
	s_and_b32 s0, vcc_lo, s0
	global_store_dword v[4:5], v0, off
	global_store_dword v[4:5], v6, off offset:512
	s_and_saveexec_b32 s1, s0
	s_cbranch_execz .LBB27_40
; %bb.39:
	s_lshl_b64 s[0:1], s[2:3], 3
	s_add_u32 s0, s22, s0
	s_addc_u32 s1, s23, s1
	global_store_dwordx2 v1, v[2:3], s[0:1]
.LBB27_40:
	s_endpgm
	.section	.rodata,"a",@progbits
	.p2align	6, 0x0
	.amdhsa_kernel _ZL18flash_attn_ext_vecILi256ELi1EL9ggml_type2ELS0_8ELb1EEvPKcS2_S2_S2_S2_PKiPfP15HIP_vector_typeIfLj2EEffffjfiS6_IjLj3EEiiiiiiiiiiiliiliiiiil
		.amdhsa_group_segment_fixed_size 2304
		.amdhsa_private_segment_fixed_size 0
		.amdhsa_kernarg_size 464
		.amdhsa_user_sgpr_count 6
		.amdhsa_user_sgpr_private_segment_buffer 1
		.amdhsa_user_sgpr_dispatch_ptr 0
		.amdhsa_user_sgpr_queue_ptr 0
		.amdhsa_user_sgpr_kernarg_segment_ptr 1
		.amdhsa_user_sgpr_dispatch_id 0
		.amdhsa_user_sgpr_flat_scratch_init 0
		.amdhsa_user_sgpr_private_segment_size 0
		.amdhsa_wavefront_size32 1
		.amdhsa_uses_dynamic_stack 0
		.amdhsa_system_sgpr_private_segment_wavefront_offset 0
		.amdhsa_system_sgpr_workgroup_id_x 1
		.amdhsa_system_sgpr_workgroup_id_y 1
		.amdhsa_system_sgpr_workgroup_id_z 1
		.amdhsa_system_sgpr_workgroup_info 0
		.amdhsa_system_vgpr_workitem_id 1
		.amdhsa_next_free_vgpr 160
		.amdhsa_next_free_sgpr 56
		.amdhsa_reserve_vcc 1
		.amdhsa_reserve_flat_scratch 0
		.amdhsa_float_round_mode_32 0
		.amdhsa_float_round_mode_16_64 0
		.amdhsa_float_denorm_mode_32 3
		.amdhsa_float_denorm_mode_16_64 3
		.amdhsa_dx10_clamp 1
		.amdhsa_ieee_mode 1
		.amdhsa_fp16_overflow 0
		.amdhsa_workgroup_processor_mode 1
		.amdhsa_memory_ordered 1
		.amdhsa_forward_progress 1
		.amdhsa_shared_vgpr_count 0
		.amdhsa_exception_fp_ieee_invalid_op 0
		.amdhsa_exception_fp_denorm_src 0
		.amdhsa_exception_fp_ieee_div_zero 0
		.amdhsa_exception_fp_ieee_overflow 0
		.amdhsa_exception_fp_ieee_underflow 0
		.amdhsa_exception_fp_ieee_inexact 0
		.amdhsa_exception_int_div_zero 0
	.end_amdhsa_kernel
	.section	.text._ZL18flash_attn_ext_vecILi256ELi1EL9ggml_type2ELS0_8ELb1EEvPKcS2_S2_S2_S2_PKiPfP15HIP_vector_typeIfLj2EEffffjfiS6_IjLj3EEiiiiiiiiiiiliiliiiiil,"axG",@progbits,_ZL18flash_attn_ext_vecILi256ELi1EL9ggml_type2ELS0_8ELb1EEvPKcS2_S2_S2_S2_PKiPfP15HIP_vector_typeIfLj2EEffffjfiS6_IjLj3EEiiiiiiiiiiiliiliiiiil,comdat
.Lfunc_end27:
	.size	_ZL18flash_attn_ext_vecILi256ELi1EL9ggml_type2ELS0_8ELb1EEvPKcS2_S2_S2_S2_PKiPfP15HIP_vector_typeIfLj2EEffffjfiS6_IjLj3EEiiiiiiiiiiiliiliiiiil, .Lfunc_end27-_ZL18flash_attn_ext_vecILi256ELi1EL9ggml_type2ELS0_8ELb1EEvPKcS2_S2_S2_S2_PKiPfP15HIP_vector_typeIfLj2EEffffjfiS6_IjLj3EEiiiiiiiiiiiliiliiiiil
                                        ; -- End function
	.set _ZL18flash_attn_ext_vecILi256ELi1EL9ggml_type2ELS0_8ELb1EEvPKcS2_S2_S2_S2_PKiPfP15HIP_vector_typeIfLj2EEffffjfiS6_IjLj3EEiiiiiiiiiiiliiliiiiil.num_vgpr, 160
	.set _ZL18flash_attn_ext_vecILi256ELi1EL9ggml_type2ELS0_8ELb1EEvPKcS2_S2_S2_S2_PKiPfP15HIP_vector_typeIfLj2EEffffjfiS6_IjLj3EEiiiiiiiiiiiliiliiiiil.num_agpr, 0
	.set _ZL18flash_attn_ext_vecILi256ELi1EL9ggml_type2ELS0_8ELb1EEvPKcS2_S2_S2_S2_PKiPfP15HIP_vector_typeIfLj2EEffffjfiS6_IjLj3EEiiiiiiiiiiiliiliiiiil.numbered_sgpr, 56
	.set _ZL18flash_attn_ext_vecILi256ELi1EL9ggml_type2ELS0_8ELb1EEvPKcS2_S2_S2_S2_PKiPfP15HIP_vector_typeIfLj2EEffffjfiS6_IjLj3EEiiiiiiiiiiiliiliiiiil.num_named_barrier, 0
	.set _ZL18flash_attn_ext_vecILi256ELi1EL9ggml_type2ELS0_8ELb1EEvPKcS2_S2_S2_S2_PKiPfP15HIP_vector_typeIfLj2EEffffjfiS6_IjLj3EEiiiiiiiiiiiliiliiiiil.private_seg_size, 0
	.set _ZL18flash_attn_ext_vecILi256ELi1EL9ggml_type2ELS0_8ELb1EEvPKcS2_S2_S2_S2_PKiPfP15HIP_vector_typeIfLj2EEffffjfiS6_IjLj3EEiiiiiiiiiiiliiliiiiil.uses_vcc, 1
	.set _ZL18flash_attn_ext_vecILi256ELi1EL9ggml_type2ELS0_8ELb1EEvPKcS2_S2_S2_S2_PKiPfP15HIP_vector_typeIfLj2EEffffjfiS6_IjLj3EEiiiiiiiiiiiliiliiiiil.uses_flat_scratch, 0
	.set _ZL18flash_attn_ext_vecILi256ELi1EL9ggml_type2ELS0_8ELb1EEvPKcS2_S2_S2_S2_PKiPfP15HIP_vector_typeIfLj2EEffffjfiS6_IjLj3EEiiiiiiiiiiiliiliiiiil.has_dyn_sized_stack, 0
	.set _ZL18flash_attn_ext_vecILi256ELi1EL9ggml_type2ELS0_8ELb1EEvPKcS2_S2_S2_S2_PKiPfP15HIP_vector_typeIfLj2EEffffjfiS6_IjLj3EEiiiiiiiiiiiliiliiiiil.has_recursion, 0
	.set _ZL18flash_attn_ext_vecILi256ELi1EL9ggml_type2ELS0_8ELb1EEvPKcS2_S2_S2_S2_PKiPfP15HIP_vector_typeIfLj2EEffffjfiS6_IjLj3EEiiiiiiiiiiiliiliiiiil.has_indirect_call, 0
	.section	.AMDGPU.csdata,"",@progbits
; Kernel info:
; codeLenInByte = 21504
; TotalNumSgprs: 58
; NumVgprs: 160
; ScratchSize: 0
; MemoryBound: 0
; FloatMode: 240
; IeeeMode: 1
; LDSByteSize: 2304 bytes/workgroup (compile time only)
; SGPRBlocks: 0
; VGPRBlocks: 19
; NumSGPRsForWavesPerEU: 58
; NumVGPRsForWavesPerEU: 160
; Occupancy: 6
; WaveLimiterHint : 0
; COMPUTE_PGM_RSRC2:SCRATCH_EN: 0
; COMPUTE_PGM_RSRC2:USER_SGPR: 6
; COMPUTE_PGM_RSRC2:TRAP_HANDLER: 0
; COMPUTE_PGM_RSRC2:TGID_X_EN: 1
; COMPUTE_PGM_RSRC2:TGID_Y_EN: 1
; COMPUTE_PGM_RSRC2:TGID_Z_EN: 1
; COMPUTE_PGM_RSRC2:TIDIG_COMP_CNT: 1
	.section	.text._ZL18flash_attn_ext_vecILi256ELi2EL9ggml_type2ELS0_8ELb0EEvPKcS2_S2_S2_S2_PKiPfP15HIP_vector_typeIfLj2EEffffjfiS6_IjLj3EEiiiiiiiiiiiliiliiiiil,"axG",@progbits,_ZL18flash_attn_ext_vecILi256ELi2EL9ggml_type2ELS0_8ELb0EEvPKcS2_S2_S2_S2_PKiPfP15HIP_vector_typeIfLj2EEffffjfiS6_IjLj3EEiiiiiiiiiiiliiliiiiil,comdat
	.globl	_ZL18flash_attn_ext_vecILi256ELi2EL9ggml_type2ELS0_8ELb0EEvPKcS2_S2_S2_S2_PKiPfP15HIP_vector_typeIfLj2EEffffjfiS6_IjLj3EEiiiiiiiiiiiliiliiiiil ; -- Begin function _ZL18flash_attn_ext_vecILi256ELi2EL9ggml_type2ELS0_8ELb0EEvPKcS2_S2_S2_S2_PKiPfP15HIP_vector_typeIfLj2EEffffjfiS6_IjLj3EEiiiiiiiiiiiliiliiiiil
	.p2align	8
	.type	_ZL18flash_attn_ext_vecILi256ELi2EL9ggml_type2ELS0_8ELb0EEvPKcS2_S2_S2_S2_PKiPfP15HIP_vector_typeIfLj2EEffffjfiS6_IjLj3EEiiiiiiiiiiiliiliiiiil,@function
_ZL18flash_attn_ext_vecILi256ELi2EL9ggml_type2ELS0_8ELb0EEvPKcS2_S2_S2_S2_PKiPfP15HIP_vector_typeIfLj2EEffffjfiS6_IjLj3EEiiiiiiiiiiiliiliiiiil: ; @_ZL18flash_attn_ext_vecILi256ELi2EL9ggml_type2ELS0_8ELb0EEvPKcS2_S2_S2_S2_PKiPfP15HIP_vector_typeIfLj2EEffffjfiS6_IjLj3EEiiiiiiiiiiiliiliiiiil
; %bb.0:
	s_clause 0x2
	s_load_dwordx2 s[36:37], s[6:7], 0x64
	s_load_dwordx2 s[40:41], s[6:7], 0x80
	;; [unrolled: 1-line block ×3, first 2 shown]
	s_mov_b32 s34, s9
	s_load_dwordx4 s[28:31], s[6:7], 0x40
	v_mov_b32_e32 v133, 1.0
	s_waitcnt lgkmcnt(0)
	v_cvt_f32_u32_e32 v3, s37
	s_sub_i32 s1, 0, s37
	v_rcp_iflag_f32_e32 v3, v3
	v_mul_f32_e32 v3, 0x4f7ffffe, v3
	v_cvt_u32_f32_e32 v3, v3
	v_readfirstlane_b32 s0, v3
	s_mul_i32 s1, s1, s0
	s_mul_hi_u32 s1, s0, s1
	s_add_i32 s0, s0, s1
	s_mul_hi_u32 s0, s10, s0
	s_mul_i32 s1, s0, s37
	s_add_i32 s2, s0, 1
	s_sub_i32 s1, s10, s1
	s_sub_i32 s3, s1, s37
	s_cmp_ge_u32 s1, s37
	s_cselect_b32 s0, s2, s0
	s_cselect_b32 s1, s3, s1
	s_add_i32 s2, s0, 1
	s_cmp_ge_u32 s1, s37
	s_cselect_b32 s33, s2, s0
	s_abs_i32 s0, s41
	s_abs_i32 s9, s37
	v_cvt_f32_u32_e32 v3, s0
	s_sub_i32 s2, 0, s0
	s_xor_b32 s3, s37, s41
	s_ashr_i32 s3, s3, 31
	v_rcp_iflag_f32_e32 v3, v3
	v_mul_f32_e32 v3, 0x4f7ffffe, v3
	v_cvt_u32_f32_e32 v3, v3
	v_readfirstlane_b32 s1, v3
	s_mul_i32 s2, s2, s1
	s_mul_hi_u32 s2, s1, s2
	s_add_i32 s1, s1, s2
	s_mul_i32 s2, s33, s37
	s_mul_hi_u32 s1, s9, s1
	s_sub_i32 s38, s10, s2
	s_mul_i32 s11, s1, s0
	s_sub_i32 s2, s9, s11
	s_add_i32 s9, s1, 1
	s_sub_i32 s10, s2, s0
	s_cmp_ge_u32 s2, s0
	s_cselect_b32 s1, s9, s1
	s_cselect_b32 s2, s10, s2
	s_add_i32 s9, s1, 1
	s_cmp_ge_u32 s2, s0
	s_cselect_b32 s0, s9, s1
	s_abs_i32 s41, s42
	s_xor_b32 s0, s0, s3
	v_cvt_f32_u32_e32 v3, s41
	s_sub_i32 s44, s0, s3
	s_load_dword s0, s[6:7], 0x50
	s_abs_i32 s42, s44
	v_cmp_le_f32_e64 s1, s29, 0
	v_cvt_f32_u32_e32 v4, s42
	v_rcp_iflag_f32_e32 v3, v3
	s_and_b32 vcc_lo, exec_lo, s1
	v_rcp_iflag_f32_e32 v4, v4
	v_mul_f32_e32 v3, 0x4f7ffffe, v3
	v_mul_f32_e32 v4, 0x4f7ffffe, v4
	v_cvt_u32_f32_e32 v3, v3
	v_cvt_u32_f32_e32 v4, v4
	v_readfirstlane_b32 s45, v3
	v_readfirstlane_b32 s46, v4
	s_cbranch_vccnz .LBB28_2
; %bb.1:
	s_waitcnt lgkmcnt(0)
	v_sub_co_u32 v4, vcc_lo, s38, s0
	v_mov_b32_e32 v3, s30
	s_add_i32 s0, s38, 1
	v_lshlrev_b32_e32 v4, 1, v4
	v_cndmask_b32_e32 v3, s31, v3, vcc_lo
	v_or_b32_e32 v4, 1, v4
	v_cndmask_b32_e64 v4, v4, s0, vcc_lo
	v_cmp_neq_f32_e32 vcc_lo, 1.0, v3
	s_mov_b32 s0, 0x3e76c4e1
	v_cvt_f32_i32_e32 v4, v4
	v_cndmask_b32_e32 v5, 1.0, v4, vcc_lo
	v_cmp_neq_f32_e32 vcc_lo, 0, v5
	v_cndmask_b32_e32 v6, 1.0, v3, vcc_lo
	v_frexp_mant_f32_e64 v3, |v6|
	v_cmp_eq_f32_e64 s2, 0, v6
	v_cmp_gt_f32_e32 vcc_lo, 0x3f2aaaab, v3
	v_cndmask_b32_e64 v4, 1.0, 2.0, vcc_lo
	v_mul_f32_e32 v3, v3, v4
	v_add_f32_e32 v4, 1.0, v3
	v_add_f32_e32 v8, -1.0, v3
	v_rcp_f32_e32 v7, v4
	v_add_f32_e32 v10, -1.0, v4
	v_sub_f32_e32 v3, v3, v10
	v_mul_f32_e32 v9, v8, v7
	v_mul_f32_e32 v11, v4, v9
	v_fma_f32 v4, v9, v4, -v11
	v_fmac_f32_e32 v4, v9, v3
	v_add_f32_e32 v3, v11, v4
	v_sub_f32_e32 v10, v8, v3
	v_sub_f32_e32 v11, v3, v11
	;; [unrolled: 1-line block ×5, first 2 shown]
	v_add_f32_e32 v3, v4, v3
	v_add_f32_e32 v3, v10, v3
	v_mul_f32_e32 v3, v7, v3
	v_add_f32_e32 v7, v9, v3
	v_sub_f32_e32 v4, v7, v9
	v_mul_f32_e32 v8, v7, v7
	v_sub_f32_e32 v9, v3, v4
	v_fma_f32 v3, v7, v7, -v8
	v_add_f32_e32 v4, v9, v9
	v_fmac_f32_e32 v3, v7, v4
	v_add_f32_e32 v10, v8, v3
	v_fmaak_f32 v4, s0, v10, 0x3e91f4c4
	v_sub_f32_e32 v8, v10, v8
	v_mul_f32_e32 v15, v7, v10
	v_fmaak_f32 v4, v10, v4, 0x3ecccdef
	v_sub_f32_e32 v8, v3, v8
	v_fma_f32 v16, v10, v7, -v15
	v_mul_f32_e32 v11, v10, v4
	v_fmac_f32_e32 v16, v10, v9
	v_ldexp_f32 v9, v9, 1
	v_fma_f32 v12, v10, v4, -v11
	v_fmac_f32_e32 v16, v8, v7
	v_fmac_f32_e32 v12, v8, v4
	v_cvt_f64_f32_e64 v[3:4], |v6|
	v_add_f32_e32 v13, v11, v12
	v_sub_f32_e32 v11, v13, v11
	v_add_f32_e32 v14, 0x3f2aaaaa, v13
	v_sub_f32_e32 v11, v12, v11
	v_add_f32_e32 v12, 0xbf2aaaaa, v14
	v_add_f32_e32 v11, 0x31739010, v11
	v_sub_f32_e32 v12, v13, v12
	v_frexp_exp_i32_f64_e32 v3, v[3:4]
	v_add_f32_e32 v10, v11, v12
	v_add_f32_e32 v11, v15, v16
	;; [unrolled: 1-line block ×3, first 2 shown]
	v_sub_f32_e32 v13, v11, v15
	v_sub_f32_e32 v4, v14, v8
	v_mul_f32_e32 v12, v11, v8
	v_sub_f32_e32 v13, v16, v13
	v_add_f32_e32 v4, v10, v4
	v_fma_f32 v10, v11, v8, -v12
	v_subrev_co_ci_u32_e64 v3, null, 0, v3, vcc_lo
	v_fmac_f32_e32 v10, v11, v4
	v_ldexp_f32 v4, v7, 1
	v_cvt_f32_i32_e32 v3, v3
	v_fmac_f32_e32 v10, v13, v8
	v_add_f32_e32 v7, v12, v10
	v_add_f32_e32 v8, v4, v7
	v_sub_f32_e32 v11, v7, v12
	v_mul_f32_e32 v12, 0x3f317218, v3
	v_sub_f32_e32 v4, v8, v4
	v_sub_f32_e32 v10, v10, v11
	v_fma_f32 v11, 0x3f317218, v3, -v12
	v_sub_f32_e32 v4, v7, v4
	v_add_f32_e32 v7, v9, v10
	v_fmamk_f32 v3, v3, 0xb102e308, v11
	v_add_f32_e32 v4, v7, v4
	v_add_f32_e32 v7, v12, v3
	;; [unrolled: 1-line block ×3, first 2 shown]
	v_sub_f32_e32 v12, v7, v12
	v_add_f32_e32 v10, v7, v9
	v_sub_f32_e32 v8, v9, v8
	v_sub_f32_e32 v3, v3, v12
	;; [unrolled: 1-line block ×6, first 2 shown]
	v_add_f32_e32 v9, v3, v4
	v_sub_f32_e32 v7, v7, v13
	v_add_f32_e32 v7, v8, v7
	v_sub_f32_e32 v8, v9, v3
	;; [unrolled: 2-line block ×3, first 2 shown]
	v_sub_f32_e32 v4, v4, v8
	v_add_f32_e32 v11, v10, v7
	v_sub_f32_e32 v3, v3, v9
	v_sub_f32_e32 v8, v11, v10
	v_add_f32_e32 v3, v4, v3
	v_sub_f32_e32 v4, v7, v8
	v_add_f32_e32 v3, v3, v4
	v_add_f32_e32 v4, v11, v3
	v_sub_f32_e32 v7, v4, v11
	v_mul_f32_e32 v8, v5, v4
	v_sub_f32_e32 v3, v3, v7
	v_fma_f32 v4, v5, v4, -v8
	v_cmp_class_f32_e64 vcc_lo, v8, 0x204
	v_fmac_f32_e32 v4, v5, v3
	v_add_f32_e32 v3, v8, v4
	v_cndmask_b32_e32 v7, v3, v8, vcc_lo
	v_sub_f32_e32 v3, v3, v8
	v_cmp_eq_f32_e32 vcc_lo, 0x42b17218, v7
	v_sub_f32_e32 v3, v4, v3
	v_cndmask_b32_e64 v9, 0, 0x37000000, vcc_lo
	v_cmp_neq_f32_e64 vcc_lo, 0x7f800000, |v7|
	v_sub_f32_e32 v10, v7, v9
	v_cndmask_b32_e32 v3, 0, v3, vcc_lo
	v_trunc_f32_e32 v7, v5
	v_mul_f32_e32 v11, 0x3fb8aa3b, v10
	v_cmp_ngt_f32_e32 vcc_lo, 0xc2ce8ed0, v10
	v_add_f32_e32 v3, v9, v3
	v_fma_f32 v12, 0x3fb8aa3b, v10, -v11
	v_rndne_f32_e32 v13, v11
	v_fmamk_f32 v12, v10, 0x32a5705f, v12
	v_sub_f32_e32 v11, v11, v13
	v_cvt_i32_f32_e32 v8, v13
	v_add_f32_e32 v11, v11, v12
	v_exp_f32_e32 v11, v11
	v_ldexp_f32 v4, v11, v8
	v_mul_f32_e32 v8, 0.5, v5
	v_cndmask_b32_e32 v4, 0, v4, vcc_lo
	v_cmp_nlt_f32_e32 vcc_lo, 0x42b17218, v10
	v_trunc_f32_e32 v11, v8
	v_cndmask_b32_e32 v4, 0x7f800000, v4, vcc_lo
	v_cmp_eq_f32_e32 vcc_lo, v7, v5
	v_cmp_neq_f32_e64 s0, v11, v8
	v_fma_f32 v3, v4, v3, v4
	v_cmp_class_f32_e64 s1, v4, 0x204
	s_and_b32 s0, vcc_lo, s0
	v_cndmask_b32_e64 v7, 1.0, v6, s0
	v_cndmask_b32_e64 v3, v3, v4, s1
	v_cmp_gt_f32_e64 s1, 0, v5
	v_bfi_b32 v3, 0x7fffffff, v3, v7
	s_xor_b32 s1, s1, s2
	v_cndmask_b32_e64 v7, 0, v6, s0
	v_cndmask_b32_e64 v4, 0x7f800000, 0, s1
	v_cmp_class_f32_e64 s0, v6, 0x204
	v_cndmask_b32_e32 v5, 0x7fc00000, v3, vcc_lo
	v_cmp_gt_f32_e32 vcc_lo, 0, v6
	v_bfi_b32 v4, 0x7fffffff, v4, v7
	v_cndmask_b32_e32 v3, v3, v5, vcc_lo
	s_or_b32 vcc_lo, s2, s0
	v_cndmask_b32_e32 v3, v3, v4, vcc_lo
	v_cmp_o_f32_e32 vcc_lo, v6, v6
	v_cndmask_b32_e32 v133, 0x7fc00000, v3, vcc_lo
.LBB28_2:
	s_waitcnt lgkmcnt(0)
	s_load_dwordx2 s[0:1], s[4:5], 0x4
	s_load_dwordx16 s[12:27], s[6:7], 0x0
	v_mov_b32_e32 v30, 0
	v_lshlrev_b32_e32 v130, 9, v1
	v_lshlrev_b32_e32 v131, 2, v0
	s_lshl_b32 s35, s8, 1
	s_mov_b32 s5, exec_lo
	s_waitcnt lgkmcnt(0)
	v_mul_u32_u24_e32 v3, s1, v1
	s_lshr_b32 s0, s0, 16
	s_mul_i32 s0, s0, s1
	v_mad_u32_u24 v3, s0, v0, v3
	v_cmp_lt_u32_e64 s0, 1, v1
	v_add_lshl_u32 v34, v3, v2, 5
	v_add_nc_u32_e32 v2, 0xa04, v34
	v_add_nc_u32_e32 v3, 0xa0c, v34
	;; [unrolled: 1-line block ×4, first 2 shown]
	ds_write2_b32 v2, v30, v30 offset1:1
	ds_write2_b32 v3, v30, v30 offset1:1
	ds_write2_b32 v4, v30, v30 offset1:1
	ds_write2_b32 v5, v30, v30 offset0:128 offset1:135
	v_cmpx_gt_u32_e32 2, v1
	s_cbranch_execz .LBB28_17
; %bb.3:
	v_lshl_add_u32 v4, v0, 3, v130
	v_sub_nc_u32_e32 v3, 0, v131
	v_or_b32_e32 v2, s35, v1
	v_or_b32_e32 v6, v130, v0
	s_mov_b32 s1, exec_lo
	v_add_nc_u32_e32 v7, v4, v3
	v_cmpx_le_i32_e64 s36, v2
	s_xor_b32 s1, exec_lo, s1
	s_cbranch_execz .LBB28_7
; %bb.4:
	v_mov_b32_e32 v2, 0
	v_mad_u32_u24 v3, v0, 3, v6
	s_mov_b32 s2, exec_lo
	ds_write_b32 v7, v2
	ds_write_b32 v3, v2 offset:128
	v_cmpx_gt_u32_e32 8, v0
; %bb.5:
	v_mov_b32_e32 v3, v2
	ds_write_b64 v4, v[2:3] offset:256
; %bb.6:
	s_or_b32 exec_lo, exec_lo, s2
                                        ; implicit-def: $vgpr7
                                        ; implicit-def: $vgpr6
.LBB28_7:
	s_andn2_saveexec_b32 s1, s1
	s_cbranch_execz .LBB28_17
; %bb.8:
	s_load_dwordx4 s[48:51], s[6:7], 0x70
	v_lshlrev_b32_e32 v3, 2, v131
	s_mov_b32 s4, exec_lo
	s_waitcnt lgkmcnt(0)
	v_mul_lo_u32 v2, s48, v1
	s_mul_i32 s1, s33, s50
	s_mul_i32 s2, s48, s35
	;; [unrolled: 1-line block ×3, first 2 shown]
	s_add_i32 s1, s1, s2
	s_add_i32 s1, s1, s3
	s_ashr_i32 s2, s1, 31
	v_ashrrev_i32_e32 v4, 31, v2
	s_add_u32 s1, s12, s1
	s_addc_u32 s2, s13, s2
	v_add_co_u32 v2, vcc_lo, s1, v2
	v_add_co_ci_u32_e64 v4, null, s2, v4, vcc_lo
	v_add_co_u32 v2, vcc_lo, v2, v3
	v_add_co_ci_u32_e64 v3, null, 0, v4, vcc_lo
	v_mbcnt_lo_u32_b32 v4, -1, 0
	global_load_dwordx4 v[16:19], v[2:3], off
	v_xor_b32_e32 v5, 4, v4
	v_xor_b32_e32 v10, 2, v4
	v_xor_b32_e32 v12, 1, v4
	v_cmp_gt_i32_e32 vcc_lo, 32, v5
	v_cndmask_b32_e32 v5, v4, v5, vcc_lo
	v_cmp_gt_i32_e32 vcc_lo, 32, v10
	v_lshlrev_b32_e32 v8, 2, v5
	v_cndmask_b32_e32 v10, v4, v10, vcc_lo
	v_cmp_gt_i32_e32 vcc_lo, 32, v12
	v_lshlrev_b32_e32 v10, 2, v10
	v_cndmask_b32_e32 v4, v4, v12, vcc_lo
	s_waitcnt vmcnt(0)
	v_mul_f32_e32 v11, s28, v16
	v_mul_f32_e32 v13, s28, v17
	;; [unrolled: 1-line block ×4, first 2 shown]
	v_max_f32_e64 v9, |v11|, |v13|
	v_max3_f32 v5, v9, |v15|, |v14|
	ds_bpermute_b32 v9, v8, v5
	s_waitcnt lgkmcnt(0)
	v_max_f32_e32 v9, v9, v9
	v_max_f32_e32 v5, v5, v9
	ds_bpermute_b32 v9, v10, v5
	s_waitcnt lgkmcnt(0)
	v_max_f32_e32 v12, v9, v9
	v_lshlrev_b32_e32 v9, 2, v4
	v_max_f32_e32 v4, v5, v12
	v_fma_f32 v12, s28, v16, v13
	ds_bpermute_b32 v5, v9, v4
	v_fmac_f32_e32 v12, s28, v18
	v_fmac_f32_e32 v12, s28, v19
	ds_bpermute_b32 v16, v8, v12
	s_waitcnt lgkmcnt(1)
	v_max_f32_e32 v5, v5, v5
	v_max_f32_e32 v4, v4, v5
	v_div_scale_f32 v17, null, 0x42fe0000, 0x42fe0000, v4
	s_waitcnt lgkmcnt(0)
	v_add_f32_e32 v5, v12, v16
	v_div_scale_f32 v19, vcc_lo, v4, 0x42fe0000, v4
	v_rcp_f32_e32 v18, v17
	ds_bpermute_b32 v16, v10, v5
	v_fma_f32 v12, -v17, v18, 1.0
	v_fmac_f32_e32 v18, v12, v18
	v_mul_f32_e32 v20, v19, v18
	s_waitcnt lgkmcnt(0)
	v_add_f32_e32 v5, v5, v16
	v_fma_f32 v12, -v17, v20, v19
	v_fmac_f32_e32 v20, v12, v18
	ds_bpermute_b32 v12, v9, v5
	v_fma_f32 v16, -v17, v20, v19
	v_div_fmas_f32 v16, v16, v18, v20
	v_div_fixup_f32 v4, v16, 0x42fe0000, v4
	v_mov_b32_e32 v16, 0
	v_cmpx_neq_f32_e32 0, v4
	s_cbranch_execz .LBB28_10
; %bb.9:
	v_div_scale_f32 v16, null, v4, v4, v11
	v_div_scale_f32 v17, null, v4, v4, v13
	;; [unrolled: 1-line block ×3, first 2 shown]
	v_rcp_f32_e32 v18, v16
	v_div_scale_f32 v20, null, v4, v4, v14
	v_rcp_f32_e32 v21, v17
	v_rcp_f32_e32 v22, v19
	v_div_scale_f32 v26, vcc_lo, v11, v4, v11
	v_rcp_f32_e32 v23, v20
	v_fma_f32 v24, -v16, v18, 1.0
	v_fma_f32 v25, -v17, v21, 1.0
	;; [unrolled: 1-line block ×3, first 2 shown]
	v_fmac_f32_e32 v18, v24, v18
	v_div_scale_f32 v24, s1, v13, v4, v13
	v_fma_f32 v28, -v20, v23, 1.0
	v_fmac_f32_e32 v21, v25, v21
	v_fmac_f32_e32 v22, v27, v22
	v_div_scale_f32 v25, s2, v15, v4, v15
	v_fmac_f32_e32 v23, v28, v23
	v_mul_f32_e32 v28, v26, v18
	v_mul_f32_e32 v29, v24, v21
	;; [unrolled: 1-line block ×3, first 2 shown]
	v_div_scale_f32 v27, s3, v14, v4, v14
	v_fma_f32 v33, -v16, v28, v26
	v_fma_f32 v35, -v17, v29, v24
	;; [unrolled: 1-line block ×3, first 2 shown]
	v_mul_f32_e32 v32, v27, v23
	v_fmac_f32_e32 v28, v33, v18
	v_fmac_f32_e32 v29, v35, v21
	;; [unrolled: 1-line block ×3, first 2 shown]
	v_fma_f32 v37, -v20, v32, v27
	v_fma_f32 v16, -v16, v28, v26
	;; [unrolled: 1-line block ×4, first 2 shown]
	v_fmac_f32_e32 v32, v37, v23
	v_div_fmas_f32 v16, v16, v18, v28
	s_mov_b32 vcc_lo, s1
	v_div_fmas_f32 v17, v17, v21, v29
	s_mov_b32 vcc_lo, s2
	v_div_fixup_f32 v11, v16, v4, v11
	v_div_fmas_f32 v18, v19, v22, v31
	v_fma_f32 v19, -v20, v32, v27
	s_mov_b32 vcc_lo, s3
	v_div_fixup_f32 v13, v17, v4, v13
	v_div_fixup_f32 v15, v18, v4, v15
	v_div_fmas_f32 v18, v19, v23, v32
	v_trunc_f32_e32 v17, v13
	v_trunc_f32_e32 v19, v15
	v_div_fixup_f32 v14, v18, v4, v14
	v_trunc_f32_e32 v18, v11
	v_sub_f32_e32 v21, v13, v17
	v_sub_f32_e32 v16, v15, v19
	v_trunc_f32_e32 v20, v14
	v_sub_f32_e32 v23, v11, v18
	v_cmp_ge_f32_e64 s1, |v16|, 0.5
	v_sub_f32_e32 v22, v14, v20
	v_cndmask_b32_e64 v16, 0, 1.0, s1
	v_cmp_ge_f32_e64 s1, |v21|, 0.5
	v_bfi_b32 v15, 0x7fffffff, v16, v15
	v_cndmask_b32_e64 v16, 0, 1.0, s1
	v_cmp_ge_f32_e64 s1, |v22|, 0.5
	v_add_f32_e32 v15, v19, v15
	v_bfi_b32 v13, 0x7fffffff, v16, v13
	v_cndmask_b32_e64 v21, 0, 1.0, s1
	v_cmp_ge_f32_e64 s1, |v23|, 0.5
	v_mov_b32_e32 v16, 8
	v_cvt_i32_f32_e32 v15, v15
	v_add_f32_e32 v13, v17, v13
	v_bfi_b32 v14, 0x7fffffff, v21, v14
	v_cndmask_b32_e64 v19, 0, 1.0, s1
	v_and_b32_e32 v15, 0xff, v15
	v_cvt_i32_f32_e32 v13, v13
	v_add_f32_e32 v14, v20, v14
	v_bfi_b32 v11, 0x7fffffff, v19, v11
	v_lshlrev_b32_e32 v15, 16, v15
	v_lshlrev_b32_sdwa v13, v16, v13 dst_sel:DWORD dst_unused:UNUSED_PAD src0_sel:DWORD src1_sel:BYTE_0
	v_cvt_i32_f32_e32 v14, v14
	v_add_f32_e32 v11, v18, v11
	v_lshl_or_b32 v14, v14, 24, v15
	v_cvt_i32_f32_e32 v11, v11
	v_and_b32_e32 v11, 0xff, v11
	v_or3_b32 v16, v14, v13, v11
.LBB28_10:
	s_or_b32 exec_lo, exec_lo, s4
	v_and_b32_e32 v11, 7, v0
	ds_write_b32 v7, v16
	v_cmp_eq_u32_e64 s1, 0, v11
	s_and_saveexec_b32 s2, s1
	s_cbranch_execz .LBB28_12
; %bb.11:
	s_waitcnt lgkmcnt(1)
	v_add_f32_e32 v5, v5, v12
	ds_write_b64 v6, v[4:5] offset:256
.LBB28_12:
	s_or_b32 exec_lo, exec_lo, s2
	global_load_dwordx4 v[14:17], v[2:3], off offset:512
	s_mov_b32 s9, exec_lo
	s_waitcnt vmcnt(0)
	v_mul_f32_e32 v5, s28, v14
	v_mul_f32_e32 v11, s28, v15
	;; [unrolled: 1-line block ×3, first 2 shown]
	s_waitcnt lgkmcnt(1)
	v_mul_f32_e32 v12, s28, v17
	v_max_f32_e64 v2, |v5|, |v11|
	v_fma_f32 v4, s28, v14, v11
	v_max3_f32 v2, v2, |v13|, |v12|
	v_fmac_f32_e32 v4, s28, v16
	ds_bpermute_b32 v3, v8, v2
	v_fmac_f32_e32 v4, s28, v17
	ds_bpermute_b32 v8, v8, v4
	s_waitcnt lgkmcnt(1)
	v_max_f32_e32 v3, v3, v3
	v_max_f32_e32 v2, v2, v3
	ds_bpermute_b32 v3, v10, v2
	s_waitcnt lgkmcnt(0)
	v_max_f32_e32 v3, v3, v3
	v_max_f32_e32 v2, v2, v3
	;; [unrolled: 4-line block ×3, first 2 shown]
	v_add_f32_e32 v3, v4, v8
	v_div_scale_f32 v14, null, 0x42fe0000, 0x42fe0000, v2
	ds_bpermute_b32 v8, v10, v3
	v_div_scale_f32 v10, vcc_lo, v2, 0x42fe0000, v2
	v_rcp_f32_e32 v15, v14
	v_fma_f32 v4, -v14, v15, 1.0
	v_fmac_f32_e32 v15, v4, v15
	s_waitcnt lgkmcnt(0)
	v_add_f32_e32 v3, v3, v8
	v_mul_f32_e32 v16, v10, v15
	v_fma_f32 v4, -v14, v16, v10
	v_fmac_f32_e32 v16, v4, v15
	ds_bpermute_b32 v4, v9, v3
	v_fma_f32 v8, -v14, v16, v10
	v_div_fmas_f32 v8, v8, v15, v16
	v_div_fixup_f32 v2, v8, 0x42fe0000, v2
	v_mov_b32_e32 v8, 0
	v_cmpx_neq_f32_e32 0, v2
	s_cbranch_execz .LBB28_14
; %bb.13:
	v_div_scale_f32 v8, null, v2, v2, v5
	v_div_scale_f32 v9, null, v2, v2, v11
	;; [unrolled: 1-line block ×3, first 2 shown]
	v_rcp_f32_e32 v10, v8
	v_div_scale_f32 v15, null, v2, v2, v12
	v_rcp_f32_e32 v16, v9
	v_rcp_f32_e32 v17, v14
	v_div_scale_f32 v21, vcc_lo, v5, v2, v5
	v_rcp_f32_e32 v18, v15
	v_fma_f32 v19, -v8, v10, 1.0
	v_fma_f32 v20, -v9, v16, 1.0
	v_fma_f32 v22, -v14, v17, 1.0
	v_fmac_f32_e32 v10, v19, v10
	v_div_scale_f32 v19, s2, v11, v2, v11
	v_fma_f32 v23, -v15, v18, 1.0
	v_fmac_f32_e32 v16, v20, v16
	v_fmac_f32_e32 v17, v22, v17
	v_div_scale_f32 v20, s3, v13, v2, v13
	v_fmac_f32_e32 v18, v23, v18
	v_mul_f32_e32 v23, v21, v10
	v_mul_f32_e32 v24, v19, v16
	;; [unrolled: 1-line block ×3, first 2 shown]
	v_div_scale_f32 v22, s4, v12, v2, v12
	v_fma_f32 v27, -v8, v23, v21
	v_fma_f32 v28, -v9, v24, v19
	;; [unrolled: 1-line block ×3, first 2 shown]
	v_mul_f32_e32 v26, v22, v18
	v_fmac_f32_e32 v23, v27, v10
	v_fmac_f32_e32 v24, v28, v16
	;; [unrolled: 1-line block ×3, first 2 shown]
	v_fma_f32 v31, -v15, v26, v22
	v_fma_f32 v8, -v8, v23, v21
	;; [unrolled: 1-line block ×4, first 2 shown]
	v_fmac_f32_e32 v26, v31, v18
	v_div_fmas_f32 v8, v8, v10, v23
	s_mov_b32 vcc_lo, s2
	v_div_fmas_f32 v9, v9, v16, v24
	s_mov_b32 vcc_lo, s3
	v_div_fixup_f32 v5, v8, v2, v5
	v_div_fmas_f32 v10, v14, v17, v25
	v_fma_f32 v14, -v15, v26, v22
	s_mov_b32 vcc_lo, s4
	v_div_fixup_f32 v9, v9, v2, v11
	v_div_fixup_f32 v10, v10, v2, v13
	v_div_fmas_f32 v13, v14, v18, v26
	v_trunc_f32_e32 v14, v10
	v_div_fixup_f32 v8, v13, v2, v12
	v_trunc_f32_e32 v12, v9
	v_trunc_f32_e32 v13, v5
	v_sub_f32_e32 v11, v10, v14
	v_trunc_f32_e32 v15, v8
	v_sub_f32_e32 v16, v9, v12
	v_sub_f32_e32 v18, v5, v13
	v_cmp_ge_f32_e64 s2, |v11|, 0.5
	v_sub_f32_e32 v17, v8, v15
	v_cndmask_b32_e64 v11, 0, 1.0, s2
	v_cmp_ge_f32_e64 s2, |v16|, 0.5
	v_bfi_b32 v10, 0x7fffffff, v11, v10
	v_cndmask_b32_e64 v11, 0, 1.0, s2
	v_cmp_ge_f32_e64 s2, |v17|, 0.5
	v_add_f32_e32 v10, v14, v10
	v_bfi_b32 v9, 0x7fffffff, v11, v9
	v_cndmask_b32_e64 v16, 0, 1.0, s2
	v_cmp_ge_f32_e64 s2, |v18|, 0.5
	v_mov_b32_e32 v11, 8
	v_cvt_i32_f32_e32 v10, v10
	v_add_f32_e32 v9, v12, v9
	v_bfi_b32 v8, 0x7fffffff, v16, v8
	v_cndmask_b32_e64 v14, 0, 1.0, s2
	v_and_b32_e32 v10, 0xff, v10
	v_cvt_i32_f32_e32 v9, v9
	v_add_f32_e32 v8, v15, v8
	v_bfi_b32 v5, 0x7fffffff, v14, v5
	v_lshlrev_b32_e32 v10, 16, v10
	v_lshlrev_b32_sdwa v9, v11, v9 dst_sel:DWORD dst_unused:UNUSED_PAD src0_sel:DWORD src1_sel:BYTE_0
	v_cvt_i32_f32_e32 v8, v8
	v_add_f32_e32 v5, v13, v5
	v_lshl_or_b32 v8, v8, 24, v10
	v_cvt_i32_f32_e32 v5, v5
	v_and_b32_e32 v5, 0xff, v5
	v_or3_b32 v8, v8, v9, v5
.LBB28_14:
	s_or_b32 exec_lo, exec_lo, s9
	ds_write_b32 v7, v8 offset:128
	s_and_saveexec_b32 s2, s1
	s_cbranch_execz .LBB28_16
; %bb.15:
	s_waitcnt lgkmcnt(1)
	v_add_f32_e32 v3, v3, v4
	ds_write_b64 v6, v[2:3] offset:288
.LBB28_16:
	s_or_b32 exec_lo, exec_lo, s2
.LBB28_17:
	s_or_b32 exec_lo, exec_lo, s5
	v_and_b32_e32 v35, 1, v0
	s_waitcnt lgkmcnt(0)
	s_barrier
	buffer_gl0_inv
	s_cmp_eq_u64 s[22:23], 0
	v_lshlrev_b32_e32 v137, 2, v35
	s_mov_b32 s39, s40
	ds_read2_b32 v[56:57], v137 offset1:2
	ds_read2_b32 v[58:59], v137 offset0:4 offset1:6
	ds_read2_b32 v[60:61], v137 offset0:8 offset1:10
	ds_read2_b32 v[62:63], v137 offset0:12 offset1:14
	ds_read2_b32 v[64:65], v137 offset0:16 offset1:18
	ds_read2_b32 v[66:67], v137 offset0:20 offset1:22
	ds_read2_b32 v[68:69], v137 offset0:24 offset1:26
	ds_read2_b32 v[70:71], v137 offset0:28 offset1:30
	ds_read2_b32 v[72:73], v137 offset0:32 offset1:34
	ds_read2_b32 v[74:75], v137 offset0:36 offset1:38
	ds_read2_b32 v[76:77], v137 offset0:40 offset1:42
	ds_read2_b32 v[78:79], v137 offset0:44 offset1:46
	ds_read2_b32 v[80:81], v137 offset0:48 offset1:50
	ds_read2_b32 v[82:83], v137 offset0:52 offset1:54
	ds_read2_b32 v[84:85], v137 offset0:56 offset1:58
	ds_read2_b32 v[86:87], v137 offset0:60 offset1:62
	ds_read2_b32 v[88:89], v137 offset0:128 offset1:130
	ds_read2_b32 v[90:91], v137 offset0:132 offset1:134
	ds_read2_b32 v[92:93], v137 offset0:136 offset1:138
	ds_read2_b32 v[94:95], v137 offset0:140 offset1:142
	ds_read2_b32 v[96:97], v137 offset0:144 offset1:146
	ds_read2_b32 v[98:99], v137 offset0:148 offset1:150
	ds_read2_b32 v[100:101], v137 offset0:152 offset1:154
	ds_read2_b32 v[102:103], v137 offset0:156 offset1:158
	ds_read2_b32 v[104:105], v137 offset0:160 offset1:162
	ds_read2_b32 v[106:107], v137 offset0:164 offset1:166
	ds_read2_b32 v[108:109], v137 offset0:168 offset1:170
	ds_read2_b32 v[110:111], v137 offset0:172 offset1:174
	ds_read2_b32 v[112:113], v137 offset0:176 offset1:178
	ds_read2_b32 v[114:115], v137 offset0:180 offset1:182
	ds_read2_b32 v[116:117], v137 offset0:184 offset1:186
	ds_read2_b32 v[118:119], v137 offset0:188 offset1:190
	ds_read_b128 v[2:5], v30 offset:256
	ds_read_b128 v[6:9], v30 offset:272
	;; [unrolled: 1-line block ×8, first 2 shown]
	s_waitcnt lgkmcnt(0)
	s_barrier
	buffer_gl0_inv
	s_cbranch_scc1 .LBB28_19
; %bb.18:
	s_load_dword s1, s[6:7], 0xd0
	s_mov_b32 s3, 0
	s_waitcnt lgkmcnt(0)
	s_mul_i32 s1, s1, s33
	s_add_i32 s2, s1, s8
	s_lshl_b64 s[2:3], s[2:3], 2
	s_add_u32 s2, s22, s2
	s_addc_u32 s3, s23, s3
	s_load_dword s39, s[2:3], 0x0
.LBB28_19:
	v_lshlrev_b32_e32 v36, 5, v1
	s_mov_b32 s28, 0xfeffffff
	s_mov_b32 s22, 0
	;; [unrolled: 1-line block ×4, first 2 shown]
	v_add_nc_u32_e32 v132, v36, v0
	v_mov_b32_e32 v125, s29
	v_mov_b32_e32 v55, s23
	v_add_nc_u32_e32 v135, 0xa00, v34
	v_mov_b32_e32 v124, s28
	v_mov_b32_e32 v54, s22
	v_mbcnt_lo_u32_b32 v136, -1, 0
	v_lshlrev_b32_e32 v134, 1, v132
	s_lshl_b32 s12, s34, 7
	s_waitcnt lgkmcnt(0)
	s_cmp_ge_i32 s12, s39
	s_cbranch_scc1 .LBB28_30
; %bb.20:
	s_clause 0x1
	s_load_dwordx4 s[8:11], s[6:7], 0x98
	s_load_dwordx2 s[2:3], s[6:7], 0x8c
	s_sub_i32 s4, 0, s42
	s_sub_i32 s5, 0, s41
	s_mul_i32 s4, s4, s46
	s_abs_i32 s13, s38
	s_mul_hi_u32 s4, s46, s4
	s_mul_i32 s5, s5, s45
	s_add_i32 s46, s46, s4
	s_ashr_i32 s48, s38, 31
	s_ashr_i32 s44, s44, 31
	;; [unrolled: 1-line block ×3, first 2 shown]
	s_mul_hi_u32 s4, s45, s5
	s_mul_hi_u32 s5, s13, s46
	s_xor_b32 s44, s48, s44
	s_add_i32 s45, s45, s4
	s_mul_i32 s4, s5, s42
	s_load_dwordx2 s[30:31], s[6:7], 0xa8
	s_sub_i32 s4, s13, s4
	s_abs_i32 s47, s33
	s_waitcnt lgkmcnt(0)
	v_mul_lo_u32 v138, v36, s10
	s_mul_hi_u32 s46, s8, s33
	s_mul_i32 s48, s8, s1
	s_mul_i32 s9, s9, s33
	s_add_i32 s46, s46, s48
	s_sub_i32 s13, s4, s42
	s_add_i32 s46, s46, s9
	s_add_i32 s9, s5, 1
	v_add_nc_u32_e32 v139, s10, v138
	s_cmp_ge_u32 s4, s42
	s_mul_i32 s8, s8, s33
	s_cselect_b32 s5, s9, s5
	s_cselect_b32 s4, s13, s4
	v_add_nc_u32_e32 v140, s10, v139
	s_add_i32 s9, s5, 1
	s_cmp_ge_u32 s4, s42
	v_and_b32_e32 v34, 30, v136
	s_cselect_b32 s9, s9, s5
	v_add_nc_u32_e32 v141, s10, v140
	s_xor_b32 s9, s9, s44
	s_load_dwordx2 s[4:5], s[6:7], 0xc8
	s_sub_i32 s9, s9, s44
	s_mul_hi_u32 s13, s30, s33
	v_add_nc_u32_e32 v142, s10, v141
	s_mul_i32 s3, s9, s3
	s_mul_i32 s42, s30, s1
	s_ashr_i32 s44, s3, 31
	s_add_u32 s8, s14, s8
	v_add_nc_u32_e32 v143, s10, v142
	s_addc_u32 s14, s15, s46
	s_add_u32 s3, s8, s3
	s_addc_u32 s14, s14, s44
	s_add_i32 s8, s13, s42
	v_add_nc_u32_e32 v144, s10, v143
	s_mul_i32 s13, s31, s33
	s_mul_i32 s9, s9, s11
	;; [unrolled: 1-line block ×3, first 2 shown]
	s_mul_hi_u32 s15, s47, s45
	v_add_nc_u32_e32 v145, s10, v144
	s_add_i32 s8, s8, s13
	s_ashr_i32 s13, s9, 31
	s_add_u32 s11, s16, s11
	s_addc_u32 s8, s17, s8
	v_add_nc_u32_e32 v146, s10, v145
	s_mul_i32 s15, s15, s41
	s_add_u32 s11, s11, s9
	s_addc_u32 s16, s8, s13
	s_sub_i32 s8, s47, s15
	v_add_nc_u32_e32 v147, s10, v146
	s_sub_i32 s9, s8, s41
	s_cmp_ge_u32 s8, s41
	s_load_dword s15, s[6:7], 0xd4
	s_cselect_b32 s8, s9, s8
	v_add_nc_u32_e32 v148, s10, v147
	s_sub_i32 s9, s8, s41
	s_cmp_ge_u32 s8, s41
	v_xor_b32_e32 v37, 1, v136
	s_cselect_b32 s8, s9, s8
	v_add_nc_u32_e32 v149, s10, v148
	s_xor_b32 s8, s8, s1
	v_add_nc_u32_e32 v34, 2, v34
	s_sub_i32 s1, s8, s1
	s_mov_b32 s13, s22
	v_add_nc_u32_e32 v150, s10, v149
	s_ashr_i32 s8, s1, 31
	s_waitcnt lgkmcnt(0)
	s_mul_hi_u32 s9, s4, s1
	s_mul_i32 s8, s4, s8
	s_mul_i32 s5, s5, s1
	v_add_nc_u32_e32 v152, s10, v150
	s_add_i32 s8, s9, s8
	s_mul_i32 s1, s4, s1
	s_add_i32 s8, s8, s5
	s_mul_i32 s5, s43, s35
	v_add_nc_u32_e32 v154, s10, v152
	s_add_u32 s1, s18, s1
	s_addc_u32 s4, s19, s8
	s_ashr_i32 s8, s5, 31
	s_add_u32 s1, s1, s5
	v_add_nc_u32_e32 v156, s10, v154
	s_addc_u32 s9, s4, s8
	s_lshl_b64 s[4:5], s[12:13], 1
	v_cmp_lt_i32_e32 vcc_lo, v37, v34
	s_add_u32 s8, s1, s4
	v_add_nc_u32_e32 v158, s10, v156
	s_mul_i32 s1, s10, s12
	s_addc_u32 s9, s9, s5
	s_add_u32 s5, s11, s1
	s_mul_i32 s1, s2, s12
	v_add_nc_u32_e32 v160, s10, v158
	v_and_b32_e32 v38, 0x7e, v0
	s_addc_u32 s11, s16, 0
	v_cndmask_b32_e32 v34, v136, v37, vcc_lo
	s_add_u32 s13, s3, s1
	v_add_nc_u32_e32 v162, s10, v160
	s_addc_u32 s16, s14, 0
	s_cmp_lg_u64 s[18:19], 0
	v_add_nc_u32_e32 v151, v36, v38
	s_cselect_b32 s30, -1, 0
	v_add_nc_u32_e32 v163, s10, v162
	s_lshl_b32 s14, s15, 7
	v_lshlrev_b32_e32 v155, 2, v34
	v_xor_b32_e32 v34, 2, v136
	s_cmp_lt_i32 s35, s36
	v_add_nc_u32_e32 v164, s10, v163
	s_cselect_b32 s1, -1, 0
	v_mul_lo_u32 v153, v151, s2
	s_and_b32 s19, s30, s1
	s_or_b32 s1, s35, 1
	v_add_nc_u32_e32 v165, s10, v164
	v_cmp_gt_i32_e32 vcc_lo, 32, v34
	s_cmp_lt_i32 s1, s36
	v_cmp_eq_u32_e64 s1, 0, v35
	v_xor_b32_e32 v35, 4, v136
	v_add_nc_u32_e32 v170, s10, v165
	v_xor_b32_e32 v37, 8, v136
	v_cndmask_b32_e32 v34, v136, v34, vcc_lo
	s_mul_i32 s17, s14, s2
	v_add_nc_u32_e32 v159, s2, v153
	v_add_nc_u32_e32 v174, s10, v170
	v_xor_b32_e32 v38, 16, v136
	v_cmp_gt_i32_e64 s2, 32, v35
	v_cmp_gt_i32_e64 s3, 32, v37
	v_lshlrev_b32_e32 v166, 2, v34
	v_add_nc_u32_e32 v179, s10, v174
	v_add_nc_u32_e32 v34, 0x80, v131
	;; [unrolled: 1-line block ×3, first 2 shown]
	v_cmp_gt_i32_e64 s4, 32, v38
	v_cndmask_b32_e64 v35, v136, v35, s2
	v_add_nc_u32_e32 v184, s10, v179
	s_cselect_b32 s31, -1, 0
	v_cndmask_b32_e64 v37, v136, v37, s3
	v_lshrrev_b32_e32 v176, 5, v34
	v_and_b32_e32 v177, 28, v34
	v_add_nc_u32_e32 v189, s10, v184
	s_ashr_i32 s2, s40, 31
	v_add_co_u32 v34, s3, s40, v151
	v_ashrrev_i32_e32 v40, 31, v39
	v_add_nc_u32_e32 v194, s10, v189
	v_cndmask_b32_e64 v38, v136, v38, s4
	v_lshlrev_b32_e32 v167, 2, v35
	v_add_co_ci_u32_e64 v35, null, s2, 0, s3
	v_add_nc_u32_e32 v199, s10, v194
	v_lshlrev_b32_e32 v168, 2, v37
	v_lshlrev_b32_e32 v169, 2, v38
	v_mov_b32_e32 v55, s23
	v_mov_b32_e32 v38, s29
	v_add_nc_u32_e32 v204, s10, v199
	v_lshlrev_b64 v[120:121], 1, v[39:40]
	v_lshlrev_b64 v[122:123], 1, v[34:35]
	v_ashrrev_i32_e32 v157, 31, v153
	v_ashrrev_i32_e32 v161, 31, v159
	v_add_nc_u32_e32 v209, s10, v204
	v_lshlrev_b32_e32 v171, 1, v36
	v_ashrrev_i32_e32 v172, 31, v138
	v_bfe_u32 v173, v0, 3, 27
	v_and_b32_e32 v175, 28, v131
	v_add_nc_u32_e32 v215, s10, v209
	v_ashrrev_i32_e32 v178, 31, v139
	v_ashrrev_i32_e32 v180, 31, v140
	;; [unrolled: 1-line block ×31, first 2 shown]
	v_mov_b32_e32 v54, s22
	v_mov_b32_e32 v37, s28
	;; [unrolled: 1-line block ×3, first 2 shown]
	s_mov_b32 s15, s22
	s_mul_i32 s18, s14, s10
	s_and_b32 s4, s30, s31
	s_lshl_b64 s[2:3], s[14:15], 1
	s_branch .LBB28_22
.LBB28_21:                              ;   in Loop: Header=BB28_22 Depth=1
	v_add_f32_e32 v34, 0x40051340, v39
	v_add_f32_e32 v35, 0x40051340, v41
	;; [unrolled: 1-line block ×3, first 2 shown]
	v_mul_u32_u24_e32 v223, 34, v173
	v_mul_hi_u32_u24_e32 v222, 34, v173
	v_mul_u32_u24_e32 v225, 34, v176
	v_max3_f32 v34, v37, v34, v35
	v_mul_hi_u32_u24_e32 v224, 34, v176
	v_cndmask_b32_e64 v39, v41, v39, s1
	s_add_i32 s12, s14, s12
	s_add_u32 s13, s13, s17
	ds_bpermute_b32 v35, v166, v34
	s_addc_u32 s16, s16, 0
	s_waitcnt lgkmcnt(0)
	v_max_f32_e32 v35, v35, v35
	v_max_f32_e32 v34, v34, v35
	ds_bpermute_b32 v35, v167, v34
	s_waitcnt lgkmcnt(0)
	v_max_f32_e32 v35, v35, v35
	v_max_f32_e32 v34, v34, v35
	ds_bpermute_b32 v35, v168, v34
	s_waitcnt lgkmcnt(0)
	v_max_f32_e32 v35, v35, v35
	v_max_f32_e32 v34, v34, v35
	ds_bpermute_b32 v35, v169, v34
	s_waitcnt lgkmcnt(0)
	v_max_f32_e32 v35, v35, v35
	v_max_f32_e32 v124, v34, v35
	v_sub_f32_e32 v34, v37, v124
	v_sub_f32_e32 v39, v39, v124
	v_mul_f32_e32 v35, 0x3fb8aa3b, v34
	v_cmp_ngt_f32_e32 vcc_lo, 0xc2ce8ed0, v34
	v_mul_f32_e32 v41, 0x3fb8aa3b, v39
	v_fma_f32 v36, 0x3fb8aa3b, v34, -v35
	v_rndne_f32_e32 v37, v35
	v_fmac_f32_e32 v36, 0x32a5705f, v34
	v_sub_f32_e32 v35, v35, v37
	v_add_f32_e32 v35, v35, v36
	v_cvt_i32_f32_e32 v36, v37
	v_exp_f32_e32 v35, v35
	v_ldexp_f32 v35, v35, v36
	v_cndmask_b32_e32 v35, 0, v35, vcc_lo
	v_cmp_nlt_f32_e32 vcc_lo, 0x42b17218, v34
	v_cndmask_b32_e32 v218, 0x7f800000, v35, vcc_lo
	v_cvt_f16_f32_e32 v34, v218
	v_mul_u32_u24_sdwa v47, v34, v217 dst_sel:DWORD dst_unused:UNUSED_PAD src0_sel:WORD_0 src1_sel:DWORD
	ds_read_b128 v[34:37], v135
	ds_read_b128 v[43:46], v135 offset:16
	s_waitcnt lgkmcnt(1)
	v_pk_mul_f16 v34, v34, v47
	v_pk_mul_f16 v35, v35, v47
	;; [unrolled: 1-line block ×4, first 2 shown]
	v_add_f32_e32 v47, 0x40051340, v40
	v_cndmask_b32_e64 v40, v42, v40, s1
	v_fma_f32 v42, 0x3fb8aa3b, v39, -v41
	v_max3_f32 v47, v38, v47, v48
	v_fmac_f32_e32 v42, 0x32a5705f, v39
	ds_bpermute_b32 v48, v166, v47
	s_waitcnt lgkmcnt(0)
	v_max_f32_e32 v48, v48, v48
	v_max_f32_e32 v47, v47, v48
	ds_bpermute_b32 v48, v167, v47
	s_waitcnt lgkmcnt(0)
	v_max_f32_e32 v48, v48, v48
	v_max_f32_e32 v47, v47, v48
	;; [unrolled: 4-line block ×4, first 2 shown]
	v_sub_f32_e32 v38, v38, v125
	v_sub_f32_e32 v40, v40, v125
	v_mul_f32_e32 v47, 0x3fb8aa3b, v38
	v_cmp_ngt_f32_e32 vcc_lo, 0xc2ce8ed0, v38
	v_fma_f32 v48, 0x3fb8aa3b, v38, -v47
	v_rndne_f32_e32 v49, v47
	v_fmac_f32_e32 v48, 0x32a5705f, v38
	v_sub_f32_e32 v47, v47, v49
	v_add_f32_e32 v47, v47, v48
	v_cvt_i32_f32_e32 v48, v49
	v_exp_f32_e32 v47, v47
	v_ldexp_f32 v47, v47, v48
	v_cndmask_b32_e32 v47, 0, v47, vcc_lo
	v_cmp_nlt_f32_e32 vcc_lo, 0x42b17218, v38
	v_cndmask_b32_e32 v219, 0x7f800000, v47, vcc_lo
	v_cvt_f16_f32_e32 v38, v219
	v_mul_u32_u24_sdwa v38, v38, v217 dst_sel:DWORD dst_unused:UNUSED_PAD src0_sel:WORD_0 src1_sel:DWORD
	v_pk_mul_f16 v126, v43, v38
	v_pk_mul_f16 v127, v44, v38
	;; [unrolled: 1-line block ×4, first 2 shown]
	v_add_co_u32 v38, vcc_lo, s5, v138
	v_add_co_ci_u32_e64 v51, null, s11, v172, vcc_lo
	v_add_co_u32 v43, vcc_lo, v38, v223
	v_add_co_ci_u32_e64 v44, null, v51, v222, vcc_lo
	;; [unrolled: 2-line block ×4, first 2 shown]
	global_load_dword v45, v[45:46], off offset:2
	v_add_co_u32 v46, vcc_lo, v48, v223
	v_add_co_ci_u32_e64 v47, null, v49, v222, vcc_lo
	v_add_co_u32 v48, vcc_lo, v48, v225
	v_add_co_ci_u32_e64 v49, null, v49, v224, vcc_lo
	;; [unrolled: 2-line block ×3, first 2 shown]
	s_clause 0x3
	global_load_ushort v128, v[48:49], off
	global_load_ushort v129, v[46:47], off
	global_load_ushort v226, v[50:51], off
	global_load_ushort v38, v[43:44], off
	v_rndne_f32_e32 v43, v41
	v_cmp_ngt_f32_e32 vcc_lo, 0xc2ce8ed0, v39
	ds_write_b128 v135, v[34:37]
	v_sub_f32_e32 v41, v41, v43
	v_cvt_i32_f32_e32 v43, v43
	v_add_f32_e32 v41, v41, v42
	v_mul_f32_e32 v42, 0x3fb8aa3b, v40
	v_exp_f32_e32 v41, v41
	v_fma_f32 v44, 0x3fb8aa3b, v40, -v42
	v_rndne_f32_e32 v220, v42
	v_fmac_f32_e32 v44, 0x32a5705f, v40
	v_sub_f32_e32 v42, v42, v220
	v_ldexp_f32 v41, v41, v43
	v_cvt_i32_f32_e32 v43, v220
	v_add_f32_e32 v42, v42, v44
	v_cndmask_b32_e32 v41, 0, v41, vcc_lo
	v_cmp_nlt_f32_e32 vcc_lo, 0x42b17218, v39
	v_exp_f32_e32 v42, v42
	v_cndmask_b32_e32 v220, 0x7f800000, v41, vcc_lo
	v_cmp_ngt_f32_e32 vcc_lo, 0xc2ce8ed0, v40
	v_cvt_f16_f32_e32 v39, v220
	v_ldexp_f32 v42, v42, v43
	v_fma_f32 v54, v218, v54, v220
	ds_write_b16 v134, v39
	v_cndmask_b32_e32 v39, 0, v42, vcc_lo
	v_cmp_nlt_f32_e32 vcc_lo, 0x42b17218, v40
	v_cndmask_b32_e32 v221, 0x7f800000, v39, vcc_lo
	v_add_co_u32 v229, vcc_lo, v50, v177
	v_add_co_ci_u32_e64 v230, null, 0, v51, vcc_lo
	v_cvt_f16_f32_e32 v39, v221
	v_add_co_u32 v231, vcc_lo, v46, v175
	v_add_co_ci_u32_e64 v232, null, 0, v47, vcc_lo
	ds_write_b16 v134, v39 offset:256
	v_add_co_u32 v233, vcc_lo, v48, v177
	v_add_co_ci_u32_e64 v234, null, 0, v49, vcc_lo
	v_fma_f32 v55, v219, v55, v221
	s_waitcnt vmcnt(4)
	v_pk_lshrrev_b16 v39, 8, v45 op_sel:[1,0] op_sel_hi:[0,0]
	v_lshrrev_b32_e32 v40, 16, v39
	v_cvt_f16_i16_sdwa v39, sext(v39) dst_sel:DWORD dst_unused:UNUSED_PAD src0_sel:BYTE_0
	v_cvt_f16_i16_sdwa v40, sext(v40) dst_sel:DWORD dst_unused:UNUSED_PAD src0_sel:BYTE_0
	s_waitcnt vmcnt(2)
	v_mul_u32_u24_e32 v129, 0x10001, v129
	s_waitcnt vmcnt(1)
	v_mul_u32_u24_e32 v226, 0x10001, v226
	;; [unrolled: 2-line block ×3, first 2 shown]
	v_pack_b32_f16 v39, v39, v40
	v_pk_lshrrev_b16 v40, 8, v45 op_sel:[1,1] op_sel_hi:[0,1]
	v_pk_mul_f16 v227, v39, v38
	v_lshrrev_b32_e32 v41, 16, v40
	v_cvt_f16_i16_sdwa v40, sext(v40) dst_sel:DWORD dst_unused:UNUSED_PAD src0_sel:BYTE_0
	v_cvt_f16_i16_sdwa v41, sext(v41) dst_sel:DWORD dst_unused:UNUSED_PAD src0_sel:BYTE_0
	v_pack_b32_f16 v40, v40, v41
	v_pk_mul_f16 v228, v40, v38
	ds_read_b128 v[42:45], v171
	ds_read_b128 v[38:41], v171 offset:16
	s_waitcnt lgkmcnt(1)
	v_mul_u32_u24_sdwa v235, v42, v217 dst_sel:DWORD dst_unused:UNUSED_PAD src0_sel:WORD_0 src1_sel:DWORD
	v_mul_u32_u24_sdwa v42, v42, v217 dst_sel:DWORD dst_unused:UNUSED_PAD src0_sel:WORD_1 src1_sel:DWORD
	v_pk_fma_f16 v236, v227, v235, v34
	v_pk_fma_f16 v237, v228, v235, v35
	ds_read_b128 v[46:49], v171 offset:256
	ds_read_b128 v[34:37], v171 offset:272
	s_waitcnt lgkmcnt(1)
	v_mul_u32_u24_sdwa v238, v46, v217 dst_sel:DWORD dst_unused:UNUSED_PAD src0_sel:WORD_0 src1_sel:DWORD
	v_mul_u32_u24_sdwa v46, v46, v217 dst_sel:DWORD dst_unused:UNUSED_PAD src0_sel:WORD_1 src1_sel:DWORD
	v_pk_fma_f16 v50, v227, v238, v126
	global_load_dword v126, v[229:230], off offset:2
	v_pk_fma_f16 v51, v228, v238, v127
	s_waitcnt vmcnt(0)
	v_pk_lshrrev_b16 v127, 8, v126 op_sel:[1,0] op_sel_hi:[0,0]
	v_pk_lshrrev_b16 v126, 8, v126 op_sel:[1,1] op_sel_hi:[0,1]
	v_lshrrev_b32_e32 v227, 16, v127
	v_cvt_f16_i16_sdwa v127, sext(v127) dst_sel:DWORD dst_unused:UNUSED_PAD src0_sel:BYTE_0
	v_cvt_f16_i16_sdwa v227, sext(v227) dst_sel:DWORD dst_unused:UNUSED_PAD src0_sel:BYTE_0
	v_pack_b32_f16 v127, v127, v227
	v_lshrrev_b32_e32 v227, 16, v126
	v_cvt_f16_i16_sdwa v126, sext(v126) dst_sel:DWORD dst_unused:UNUSED_PAD src0_sel:BYTE_0
	v_cvt_f16_i16_sdwa v227, sext(v227) dst_sel:DWORD dst_unused:UNUSED_PAD src0_sel:BYTE_0
	v_pack_b32_f16 v126, v126, v227
	v_pk_mul_f16 v227, v127, v226
	v_pk_mul_f16 v226, v126, v226
	s_clause 0x1
	global_load_dword v126, v[231:232], off offset:2
	global_load_dword v127, v[233:234], off offset:2
	v_pk_fma_f16 v52, v227, v238, v52
	v_pk_fma_f16 v53, v226, v238, v53
	ds_write_b128 v135, v[50:53] offset:16
	s_waitcnt vmcnt(1)
	v_pk_lshrrev_b16 v228, 8, v126 op_sel:[1,0] op_sel_hi:[0,0]
	v_pk_lshrrev_b16 v126, 8, v126 op_sel:[1,1] op_sel_hi:[0,1]
	v_lshrrev_b32_e32 v229, 16, v228
	v_cvt_f16_i16_sdwa v228, sext(v228) dst_sel:DWORD dst_unused:UNUSED_PAD src0_sel:BYTE_0
	v_cvt_f16_i16_sdwa v229, sext(v229) dst_sel:DWORD dst_unused:UNUSED_PAD src0_sel:BYTE_0
	v_pack_b32_f16 v228, v228, v229
	v_lshrrev_b32_e32 v229, 16, v126
	v_cvt_f16_i16_sdwa v126, sext(v126) dst_sel:DWORD dst_unused:UNUSED_PAD src0_sel:BYTE_0
	v_pk_mul_f16 v228, v228, v129
	v_cvt_f16_i16_sdwa v229, sext(v229) dst_sel:DWORD dst_unused:UNUSED_PAD src0_sel:BYTE_0
	v_pack_b32_f16 v126, v126, v229
	s_waitcnt vmcnt(0)
	v_pk_lshrrev_b16 v229, 8, v127 op_sel:[1,0] op_sel_hi:[0,0]
	v_pk_lshrrev_b16 v127, 8, v127 op_sel:[1,1] op_sel_hi:[0,1]
	v_lshrrev_b32_e32 v230, 16, v229
	v_cvt_f16_i16_sdwa v229, sext(v229) dst_sel:DWORD dst_unused:UNUSED_PAD src0_sel:BYTE_0
	v_cvt_f16_i16_sdwa v230, sext(v230) dst_sel:DWORD dst_unused:UNUSED_PAD src0_sel:BYTE_0
	v_pack_b32_f16 v229, v229, v230
	v_lshrrev_b32_e32 v230, 16, v127
	v_cvt_f16_i16_sdwa v127, sext(v127) dst_sel:DWORD dst_unused:UNUSED_PAD src0_sel:BYTE_0
	v_cvt_f16_i16_sdwa v230, sext(v230) dst_sel:DWORD dst_unused:UNUSED_PAD src0_sel:BYTE_0
	v_pack_b32_f16 v127, v127, v230
	v_pk_mul_f16 v230, v126, v129
	v_mul_u32_u24_e32 v126, 0x10001, v128
	v_pk_mul_f16 v229, v229, v126
	v_pk_mul_f16 v231, v127, v126
	v_pk_fma_f16 v126, v228, v46, v50
	v_pk_fma_f16 v127, v230, v46, v51
	ds_read_b64 v[50:51], v135 offset:8
	v_pk_fma_f16 v128, v229, v46, v52
	v_pk_fma_f16 v129, v231, v46, v53
	s_waitcnt lgkmcnt(0)
	v_pk_fma_f16 v46, v227, v235, v50
	v_pk_fma_f16 v53, v226, v235, v51
	;; [unrolled: 1-line block ×6, first 2 shown]
	v_add_co_u32 v42, vcc_lo, s5, v140
	v_add_co_ci_u32_e64 v46, null, s11, v180, vcc_lo
	v_add_co_u32 v226, vcc_lo, v42, v223
	v_add_co_ci_u32_e64 v227, null, v46, v222, vcc_lo
	;; [unrolled: 2-line block ×3, first 2 shown]
	global_load_dword v234, v[228:229], off offset:2
	v_add_co_u32 v228, vcc_lo, v42, v225
	v_add_co_ci_u32_e64 v229, null, v46, v224, vcc_lo
	v_add_co_u32 v230, vcc_lo, v228, v177
	v_add_co_ci_u32_e64 v231, null, 0, v229, vcc_lo
	;; [unrolled: 2-line block ×3, first 2 shown]
	global_load_dword v42, v[230:231], off offset:2
	v_add_co_u32 v230, vcc_lo, v46, v225
	v_add_co_ci_u32_e64 v231, null, v233, v224, vcc_lo
	v_add_co_u32 v232, vcc_lo, v46, v223
	v_add_co_ci_u32_e64 v233, null, v233, v222, vcc_lo
	s_clause 0x3
	global_load_ushort v46, v[230:231], off
	global_load_ushort v235, v[232:233], off
	;; [unrolled: 1-line block ×4, first 2 shown]
	ds_write_b128 v135, v[50:53]
	ds_write_b128 v135, v[126:129] offset:16
	s_waitcnt vmcnt(5)
	v_pk_lshrrev_b16 v227, 8, v234 op_sel:[1,0] op_sel_hi:[0,0]
	v_lshrrev_b32_e32 v229, 16, v227
	v_cvt_f16_i16_sdwa v227, sext(v227) dst_sel:DWORD dst_unused:UNUSED_PAD src0_sel:BYTE_0
	v_cvt_f16_i16_sdwa v229, sext(v229) dst_sel:DWORD dst_unused:UNUSED_PAD src0_sel:BYTE_0
	v_pack_b32_f16 v227, v227, v229
	v_pk_lshrrev_b16 v229, 8, v234 op_sel:[1,1] op_sel_hi:[0,1]
	v_lshrrev_b32_e32 v234, 16, v229
	v_cvt_f16_i16_sdwa v229, sext(v229) dst_sel:DWORD dst_unused:UNUSED_PAD src0_sel:BYTE_0
	s_waitcnt vmcnt(3)
	v_mul_u32_u24_e32 v46, 0x10001, v46
	s_waitcnt vmcnt(0)
	v_mul_u32_u24_e32 v226, 0x10001, v226
	v_cvt_f16_i16_sdwa v234, sext(v234) dst_sel:DWORD dst_unused:UNUSED_PAD src0_sel:BYTE_0
	v_pack_b32_f16 v229, v229, v234
	v_pk_lshrrev_b16 v234, 8, v42 op_sel:[1,0] op_sel_hi:[0,0]
	v_pk_lshrrev_b16 v42, 8, v42 op_sel:[1,1] op_sel_hi:[0,1]
	v_pk_mul_f16 v237, v229, v226
	v_lshrrev_b32_e32 v236, 16, v234
	v_cvt_f16_i16_sdwa v234, sext(v234) dst_sel:DWORD dst_unused:UNUSED_PAD src0_sel:BYTE_0
	v_mul_u32_u24_sdwa v229, v43, v217 dst_sel:DWORD dst_unused:UNUSED_PAD src0_sel:WORD_0 src1_sel:DWORD
	v_mul_u32_u24_sdwa v43, v43, v217 dst_sel:DWORD dst_unused:UNUSED_PAD src0_sel:WORD_1 src1_sel:DWORD
	v_cvt_f16_i16_sdwa v236, sext(v236) dst_sel:DWORD dst_unused:UNUSED_PAD src0_sel:BYTE_0
	v_pack_b32_f16 v234, v234, v236
	v_lshrrev_b32_e32 v236, 16, v42
	v_cvt_f16_i16_sdwa v42, sext(v42) dst_sel:DWORD dst_unused:UNUSED_PAD src0_sel:BYTE_0
	v_cvt_f16_i16_sdwa v236, sext(v236) dst_sel:DWORD dst_unused:UNUSED_PAD src0_sel:BYTE_0
	v_pack_b32_f16 v42, v42, v236
	v_pk_mul_f16 v236, v227, v226
	v_mul_u32_u24_e32 v226, 0x10001, v228
	v_pk_fma_f16 v227, v237, v229, v51
	v_pk_mul_f16 v234, v234, v226
	v_pk_mul_f16 v42, v42, v226
	v_pk_fma_f16 v226, v236, v229, v50
	v_pk_fma_f16 v228, v234, v229, v52
	;; [unrolled: 1-line block ×3, first 2 shown]
	v_mul_u32_u24_sdwa v53, v47, v217 dst_sel:DWORD dst_unused:UNUSED_PAD src0_sel:WORD_0 src1_sel:DWORD
	v_pk_fma_f16 v50, v236, v53, v126
	v_add_co_u32 v126, vcc_lo, v232, v175
	v_pk_fma_f16 v51, v237, v53, v127
	v_pk_fma_f16 v52, v234, v53, v128
	v_add_co_ci_u32_e64 v127, null, 0, v233, vcc_lo
	v_add_co_u32 v128, vcc_lo, v230, v177
	v_pk_fma_f16 v53, v42, v53, v129
	v_add_co_ci_u32_e64 v129, null, 0, v231, vcc_lo
	s_clause 0x1
	global_load_dword v42, v[126:127], off offset:2
	global_load_dword v126, v[128:129], off offset:2
	ds_write_b128 v135, v[226:229]
	ds_write_b128 v135, v[50:53] offset:16
	s_waitcnt vmcnt(1)
	v_pk_lshrrev_b16 v127, 8, v42 op_sel:[1,0] op_sel_hi:[0,0]
	v_pk_lshrrev_b16 v42, 8, v42 op_sel:[1,1] op_sel_hi:[0,1]
	v_lshrrev_b32_e32 v128, 16, v127
	v_cvt_f16_i16_sdwa v127, sext(v127) dst_sel:DWORD dst_unused:UNUSED_PAD src0_sel:BYTE_0
	v_cvt_f16_i16_sdwa v128, sext(v128) dst_sel:DWORD dst_unused:UNUSED_PAD src0_sel:BYTE_0
	v_pack_b32_f16 v127, v127, v128
	v_lshrrev_b32_e32 v128, 16, v42
	v_cvt_f16_i16_sdwa v42, sext(v42) dst_sel:DWORD dst_unused:UNUSED_PAD src0_sel:BYTE_0
	v_cvt_f16_i16_sdwa v128, sext(v128) dst_sel:DWORD dst_unused:UNUSED_PAD src0_sel:BYTE_0
	v_pack_b32_f16 v42, v42, v128
	s_waitcnt vmcnt(0)
	v_pk_lshrrev_b16 v128, 8, v126 op_sel:[1,0] op_sel_hi:[0,0]
	v_pk_lshrrev_b16 v126, 8, v126 op_sel:[1,1] op_sel_hi:[0,1]
	v_lshrrev_b32_e32 v129, 16, v128
	v_cvt_f16_i16_sdwa v128, sext(v128) dst_sel:DWORD dst_unused:UNUSED_PAD src0_sel:BYTE_0
	v_cvt_f16_i16_sdwa v129, sext(v129) dst_sel:DWORD dst_unused:UNUSED_PAD src0_sel:BYTE_0
	v_pack_b32_f16 v128, v128, v129
	v_lshrrev_b32_e32 v129, 16, v126
	v_cvt_f16_i16_sdwa v126, sext(v126) dst_sel:DWORD dst_unused:UNUSED_PAD src0_sel:BYTE_0
	v_pk_mul_f16 v231, v128, v46
	v_cvt_f16_i16_sdwa v129, sext(v129) dst_sel:DWORD dst_unused:UNUSED_PAD src0_sel:BYTE_0
	v_pk_fma_f16 v128, v231, v43, v228
	v_pack_b32_f16 v126, v126, v129
	v_mul_u32_u24_e32 v129, 0x10001, v235
	v_pk_mul_f16 v46, v126, v46
	v_pk_mul_f16 v230, v127, v129
	;; [unrolled: 1-line block ×3, first 2 shown]
	v_pk_fma_f16 v129, v46, v43, v229
	v_pk_fma_f16 v126, v230, v43, v226
	;; [unrolled: 1-line block ×3, first 2 shown]
	v_mul_u32_u24_sdwa v43, v47, v217 dst_sel:DWORD dst_unused:UNUSED_PAD src0_sel:WORD_1 src1_sel:DWORD
	v_pk_fma_f16 v226, v230, v43, v50
	v_add_co_u32 v50, vcc_lo, s5, v142
	v_pk_fma_f16 v227, v42, v43, v51
	v_add_co_ci_u32_e64 v51, null, s11, v182, vcc_lo
	v_add_co_u32 v42, vcc_lo, v50, v223
	v_pk_fma_f16 v228, v231, v43, v52
	v_pk_fma_f16 v229, v46, v43, v53
	v_add_co_ci_u32_e64 v43, null, v51, v222, vcc_lo
	v_add_co_u32 v46, vcc_lo, v42, v175
	v_add_co_ci_u32_e64 v47, null, 0, v43, vcc_lo
	global_load_dword v52, v[46:47], off offset:2
	v_add_co_u32 v46, vcc_lo, v50, v225
	v_add_co_ci_u32_e64 v47, null, v51, v224, vcc_lo
	v_add_co_u32 v50, vcc_lo, s5, v143
	v_add_co_ci_u32_e64 v51, null, s11, v183, vcc_lo
	;; [unrolled: 2-line block ×5, first 2 shown]
	s_clause 0x4
	global_load_ushort v234, v[232:233], off
	global_load_ushort v235, v[230:231], off
	;; [unrolled: 1-line block ×4, first 2 shown]
	global_load_dword v43, v[50:51], off offset:2
	ds_write_b128 v135, v[126:129]
	ds_write_b128 v135, v[226:229] offset:16
	s_waitcnt vmcnt(5)
	v_pk_lshrrev_b16 v47, 8, v52 op_sel:[1,0] op_sel_hi:[0,0]
	v_lshrrev_b32_e32 v50, 16, v47
	v_cvt_f16_i16_sdwa v47, sext(v47) dst_sel:DWORD dst_unused:UNUSED_PAD src0_sel:BYTE_0
	v_cvt_f16_i16_sdwa v50, sext(v50) dst_sel:DWORD dst_unused:UNUSED_PAD src0_sel:BYTE_0
	v_pack_b32_f16 v47, v47, v50
	v_pk_lshrrev_b16 v50, 8, v52 op_sel:[1,1] op_sel_hi:[0,1]
	s_waitcnt vmcnt(2)
	v_mul_u32_u24_e32 v46, 0x10001, v46
	v_lshrrev_b32_e32 v51, 16, v50
	v_cvt_f16_i16_sdwa v50, sext(v50) dst_sel:DWORD dst_unused:UNUSED_PAD src0_sel:BYTE_0
	s_waitcnt vmcnt(1)
	v_mul_u32_u24_e32 v42, 0x10001, v42
	v_cvt_f16_i16_sdwa v51, sext(v51) dst_sel:DWORD dst_unused:UNUSED_PAD src0_sel:BYTE_0
	v_pk_mul_f16 v47, v47, v42
	v_pack_b32_f16 v50, v50, v51
	v_pk_mul_f16 v42, v50, v42
	s_waitcnt vmcnt(0)
	v_pk_lshrrev_b16 v50, 8, v43 op_sel:[1,0] op_sel_hi:[0,0]
	v_pk_lshrrev_b16 v43, 8, v43 op_sel:[1,1] op_sel_hi:[0,1]
	v_lshrrev_b32_e32 v51, 16, v50
	v_cvt_f16_i16_sdwa v50, sext(v50) dst_sel:DWORD dst_unused:UNUSED_PAD src0_sel:BYTE_0
	v_cvt_f16_i16_sdwa v51, sext(v51) dst_sel:DWORD dst_unused:UNUSED_PAD src0_sel:BYTE_0
	v_pack_b32_f16 v50, v50, v51
	v_lshrrev_b32_e32 v51, 16, v43
	v_cvt_f16_i16_sdwa v43, sext(v43) dst_sel:DWORD dst_unused:UNUSED_PAD src0_sel:BYTE_0
	v_pk_mul_f16 v236, v50, v46
	v_cvt_f16_i16_sdwa v51, sext(v51) dst_sel:DWORD dst_unused:UNUSED_PAD src0_sel:BYTE_0
	v_pack_b32_f16 v43, v43, v51
	v_pk_mul_f16 v43, v43, v46
	v_mul_u32_u24_sdwa v46, v44, v217 dst_sel:DWORD dst_unused:UNUSED_PAD src0_sel:WORD_0 src1_sel:DWORD
	v_mul_u32_u24_sdwa v44, v44, v217 dst_sel:DWORD dst_unused:UNUSED_PAD src0_sel:WORD_1 src1_sel:DWORD
	v_pk_fma_f16 v50, v47, v46, v126
	v_pk_fma_f16 v51, v42, v46, v127
	;; [unrolled: 1-line block ×4, first 2 shown]
	v_mul_u32_u24_sdwa v46, v48, v217 dst_sel:DWORD dst_unused:UNUSED_PAD src0_sel:WORD_0 src1_sel:DWORD
	v_pk_fma_f16 v127, v42, v46, v227
	v_add_co_u32 v42, vcc_lo, v230, v175
	v_pk_fma_f16 v126, v47, v46, v226
	v_pk_fma_f16 v128, v236, v46, v228
	;; [unrolled: 1-line block ×3, first 2 shown]
	v_add_co_ci_u32_e64 v43, null, 0, v231, vcc_lo
	v_add_co_u32 v46, vcc_lo, v232, v177
	v_add_co_ci_u32_e64 v47, null, 0, v233, vcc_lo
	s_clause 0x1
	global_load_dword v42, v[42:43], off offset:2
	global_load_dword v43, v[46:47], off offset:2
	ds_write_b128 v135, v[50:53]
	ds_write_b128 v135, v[126:129] offset:16
	s_waitcnt vmcnt(1)
	v_pk_lshrrev_b16 v46, 8, v42 op_sel:[1,0] op_sel_hi:[0,0]
	v_pk_lshrrev_b16 v42, 8, v42 op_sel:[1,1] op_sel_hi:[0,1]
	v_lshrrev_b32_e32 v47, 16, v46
	v_cvt_f16_i16_sdwa v46, sext(v46) dst_sel:DWORD dst_unused:UNUSED_PAD src0_sel:BYTE_0
	v_cvt_f16_i16_sdwa v47, sext(v47) dst_sel:DWORD dst_unused:UNUSED_PAD src0_sel:BYTE_0
	v_pack_b32_f16 v46, v46, v47
	v_lshrrev_b32_e32 v47, 16, v42
	v_cvt_f16_i16_sdwa v42, sext(v42) dst_sel:DWORD dst_unused:UNUSED_PAD src0_sel:BYTE_0
	v_cvt_f16_i16_sdwa v47, sext(v47) dst_sel:DWORD dst_unused:UNUSED_PAD src0_sel:BYTE_0
	v_pack_b32_f16 v42, v42, v47
	v_mul_u32_u24_e32 v47, 0x10001, v235
	v_pk_mul_f16 v46, v46, v47
	v_pk_mul_f16 v42, v42, v47
	s_waitcnt vmcnt(0)
	v_pk_lshrrev_b16 v47, 8, v43 op_sel:[1,0] op_sel_hi:[0,0]
	v_pk_lshrrev_b16 v43, 8, v43 op_sel:[1,1] op_sel_hi:[0,1]
	v_pk_fma_f16 v227, v42, v44, v51
	v_lshrrev_b32_e32 v226, 16, v47
	v_cvt_f16_i16_sdwa v47, sext(v47) dst_sel:DWORD dst_unused:UNUSED_PAD src0_sel:BYTE_0
	v_cvt_f16_i16_sdwa v226, sext(v226) dst_sel:DWORD dst_unused:UNUSED_PAD src0_sel:BYTE_0
	v_pack_b32_f16 v47, v47, v226
	v_lshrrev_b32_e32 v226, 16, v43
	v_cvt_f16_i16_sdwa v43, sext(v43) dst_sel:DWORD dst_unused:UNUSED_PAD src0_sel:BYTE_0
	v_cvt_f16_i16_sdwa v226, sext(v226) dst_sel:DWORD dst_unused:UNUSED_PAD src0_sel:BYTE_0
	v_pack_b32_f16 v43, v43, v226
	v_mul_u32_u24_e32 v226, 0x10001, v234
	v_pk_mul_f16 v47, v47, v226
	v_pk_mul_f16 v43, v43, v226
	v_pk_fma_f16 v226, v46, v44, v50
	v_pk_fma_f16 v228, v47, v44, v52
	;; [unrolled: 1-line block ×3, first 2 shown]
	v_mul_u32_u24_sdwa v44, v48, v217 dst_sel:DWORD dst_unused:UNUSED_PAD src0_sel:WORD_1 src1_sel:DWORD
	v_pk_fma_f16 v50, v46, v44, v126
	v_pk_fma_f16 v51, v42, v44, v127
	;; [unrolled: 1-line block ×4, first 2 shown]
	v_add_co_u32 v44, vcc_lo, s5, v144
	v_add_co_ci_u32_e64 v48, null, s11, v185, vcc_lo
	v_add_co_u32 v42, vcc_lo, v44, v223
	v_add_co_ci_u32_e64 v43, null, v48, v222, vcc_lo
	;; [unrolled: 2-line block ×3, first 2 shown]
	global_load_dword v128, v[46:47], off offset:2
	v_add_co_u32 v46, vcc_lo, v44, v225
	v_add_co_ci_u32_e64 v47, null, v48, v224, vcc_lo
	v_add_co_u32 v44, vcc_lo, s5, v145
	v_add_co_ci_u32_e64 v48, null, s11, v186, vcc_lo
	;; [unrolled: 2-line block ×5, first 2 shown]
	s_clause 0x4
	global_load_ushort v48, v[232:233], off
	global_load_ushort v234, v[230:231], off
	;; [unrolled: 1-line block ×4, first 2 shown]
	global_load_dword v43, v[126:127], off offset:2
	ds_write_b128 v135, v[226:229]
	ds_write_b128 v135, v[50:53] offset:16
	s_waitcnt vmcnt(5)
	v_pk_lshrrev_b16 v46, 8, v128 op_sel:[1,0] op_sel_hi:[0,0]
	v_lshrrev_b32_e32 v47, 16, v46
	v_cvt_f16_i16_sdwa v46, sext(v46) dst_sel:DWORD dst_unused:UNUSED_PAD src0_sel:BYTE_0
	v_cvt_f16_i16_sdwa v47, sext(v47) dst_sel:DWORD dst_unused:UNUSED_PAD src0_sel:BYTE_0
	v_pack_b32_f16 v46, v46, v47
	v_pk_lshrrev_b16 v47, 8, v128 op_sel:[1,1] op_sel_hi:[0,1]
	s_waitcnt vmcnt(2)
	v_mul_u32_u24_e32 v44, 0x10001, v44
	v_lshrrev_b32_e32 v126, 16, v47
	v_cvt_f16_i16_sdwa v47, sext(v47) dst_sel:DWORD dst_unused:UNUSED_PAD src0_sel:BYTE_0
	s_waitcnt vmcnt(1)
	v_mul_u32_u24_e32 v42, 0x10001, v42
	v_cvt_f16_i16_sdwa v126, sext(v126) dst_sel:DWORD dst_unused:UNUSED_PAD src0_sel:BYTE_0
	v_pk_mul_f16 v46, v46, v42
	v_pack_b32_f16 v47, v47, v126
	v_pk_mul_f16 v42, v47, v42
	s_waitcnt vmcnt(0)
	v_pk_lshrrev_b16 v47, 8, v43 op_sel:[1,0] op_sel_hi:[0,0]
	v_pk_lshrrev_b16 v43, 8, v43 op_sel:[1,1] op_sel_hi:[0,1]
	v_lshrrev_b32_e32 v126, 16, v47
	v_cvt_f16_i16_sdwa v47, sext(v47) dst_sel:DWORD dst_unused:UNUSED_PAD src0_sel:BYTE_0
	v_cvt_f16_i16_sdwa v126, sext(v126) dst_sel:DWORD dst_unused:UNUSED_PAD src0_sel:BYTE_0
	v_pack_b32_f16 v47, v47, v126
	v_lshrrev_b32_e32 v126, 16, v43
	v_cvt_f16_i16_sdwa v43, sext(v43) dst_sel:DWORD dst_unused:UNUSED_PAD src0_sel:BYTE_0
	v_pk_mul_f16 v47, v47, v44
	v_cvt_f16_i16_sdwa v126, sext(v126) dst_sel:DWORD dst_unused:UNUSED_PAD src0_sel:BYTE_0
	v_pack_b32_f16 v43, v43, v126
	v_pk_mul_f16 v43, v43, v44
	v_mul_u32_u24_sdwa v44, v45, v217 dst_sel:DWORD dst_unused:UNUSED_PAD src0_sel:WORD_0 src1_sel:DWORD
	v_pk_fma_f16 v126, v46, v44, v226
	v_pk_fma_f16 v127, v42, v44, v227
	;; [unrolled: 1-line block ×4, first 2 shown]
	v_mul_u32_u24_sdwa v44, v49, v217 dst_sel:DWORD dst_unused:UNUSED_PAD src0_sel:WORD_0 src1_sel:DWORD
	v_mul_u32_u24_sdwa v49, v49, v217 dst_sel:DWORD dst_unused:UNUSED_PAD src0_sel:WORD_1 src1_sel:DWORD
	v_pk_fma_f16 v227, v42, v44, v51
	v_add_co_u32 v42, vcc_lo, v230, v175
	v_pk_fma_f16 v226, v46, v44, v50
	v_pk_fma_f16 v228, v47, v44, v52
	v_pk_fma_f16 v229, v43, v44, v53
	v_add_co_ci_u32_e64 v43, null, 0, v231, vcc_lo
	v_add_co_u32 v44, vcc_lo, v232, v177
	v_mul_u32_u24_sdwa v46, v45, v217 dst_sel:DWORD dst_unused:UNUSED_PAD src0_sel:WORD_1 src1_sel:DWORD
	v_add_co_ci_u32_e64 v45, null, 0, v233, vcc_lo
	s_clause 0x1
	global_load_dword v42, v[42:43], off offset:2
	global_load_dword v43, v[44:45], off offset:2
	ds_write_b128 v135, v[126:129]
	ds_write_b128 v135, v[226:229] offset:16
	s_waitcnt vmcnt(1)
	v_pk_lshrrev_b16 v44, 8, v42 op_sel:[1,0] op_sel_hi:[0,0]
	v_pk_lshrrev_b16 v42, 8, v42 op_sel:[1,1] op_sel_hi:[0,1]
	v_lshrrev_b32_e32 v45, 16, v44
	v_cvt_f16_i16_sdwa v44, sext(v44) dst_sel:DWORD dst_unused:UNUSED_PAD src0_sel:BYTE_0
	v_cvt_f16_i16_sdwa v45, sext(v45) dst_sel:DWORD dst_unused:UNUSED_PAD src0_sel:BYTE_0
	v_pack_b32_f16 v44, v44, v45
	v_lshrrev_b32_e32 v45, 16, v42
	v_cvt_f16_i16_sdwa v42, sext(v42) dst_sel:DWORD dst_unused:UNUSED_PAD src0_sel:BYTE_0
	v_cvt_f16_i16_sdwa v45, sext(v45) dst_sel:DWORD dst_unused:UNUSED_PAD src0_sel:BYTE_0
	v_pack_b32_f16 v42, v42, v45
	v_mul_u32_u24_e32 v45, 0x10001, v234
	v_pk_mul_f16 v50, v42, v45
	s_waitcnt vmcnt(0)
	v_pk_lshrrev_b16 v42, 8, v43 op_sel:[1,0] op_sel_hi:[0,0]
	v_pk_mul_f16 v47, v44, v45
	v_pk_lshrrev_b16 v43, 8, v43 op_sel:[1,1] op_sel_hi:[0,1]
	v_lshrrev_b32_e32 v44, 16, v42
	v_cvt_f16_i16_sdwa v42, sext(v42) dst_sel:DWORD dst_unused:UNUSED_PAD src0_sel:BYTE_0
	v_cvt_f16_i16_sdwa v44, sext(v44) dst_sel:DWORD dst_unused:UNUSED_PAD src0_sel:BYTE_0
	v_pack_b32_f16 v42, v42, v44
	v_lshrrev_b32_e32 v44, 16, v43
	v_cvt_f16_i16_sdwa v43, sext(v43) dst_sel:DWORD dst_unused:UNUSED_PAD src0_sel:BYTE_0
	v_cvt_f16_i16_sdwa v44, sext(v44) dst_sel:DWORD dst_unused:UNUSED_PAD src0_sel:BYTE_0
	v_pack_b32_f16 v43, v43, v44
	v_mul_u32_u24_e32 v44, 0x10001, v48
	v_pk_mul_f16 v48, v42, v44
	v_pk_mul_f16 v51, v43, v44
	v_pk_fma_f16 v42, v47, v46, v126
	v_add_co_u32 v126, vcc_lo, s5, v146
	v_pk_fma_f16 v43, v50, v46, v127
	v_add_co_ci_u32_e64 v127, null, s11, v187, vcc_lo
	v_pk_fma_f16 v44, v48, v46, v128
	v_pk_fma_f16 v45, v51, v46, v129
	;; [unrolled: 1-line block ×4, first 2 shown]
	v_add_co_u32 v50, vcc_lo, v126, v223
	v_pk_fma_f16 v48, v48, v49, v228
	v_pk_fma_f16 v49, v51, v49, v229
	v_add_co_ci_u32_e64 v51, null, v127, v222, vcc_lo
	v_add_co_u32 v52, vcc_lo, v50, v175
	v_add_co_ci_u32_e64 v53, null, 0, v51, vcc_lo
	global_load_dword v228, v[52:53], off offset:2
	v_add_co_u32 v52, vcc_lo, v126, v225
	v_add_co_ci_u32_e64 v53, null, v127, v224, vcc_lo
	v_add_co_u32 v128, vcc_lo, s5, v147
	v_add_co_ci_u32_e64 v129, null, s11, v188, vcc_lo
	;; [unrolled: 2-line block ×5, first 2 shown]
	s_clause 0x4
	global_load_ushort v229, v[128:129], off
	global_load_ushort v230, v[126:127], off
	;; [unrolled: 1-line block ×4, first 2 shown]
	global_load_dword v51, v[226:227], off offset:2
	ds_write_b128 v135, v[42:45]
	ds_write_b128 v135, v[46:49] offset:16
	s_waitcnt vmcnt(5)
	v_pk_lshrrev_b16 v53, 8, v228 op_sel:[1,0] op_sel_hi:[0,0]
	v_lshrrev_b32_e32 v226, 16, v53
	v_cvt_f16_i16_sdwa v53, sext(v53) dst_sel:DWORD dst_unused:UNUSED_PAD src0_sel:BYTE_0
	v_cvt_f16_i16_sdwa v226, sext(v226) dst_sel:DWORD dst_unused:UNUSED_PAD src0_sel:BYTE_0
	v_pack_b32_f16 v53, v53, v226
	v_pk_lshrrev_b16 v226, 8, v228 op_sel:[1,1] op_sel_hi:[0,1]
	s_waitcnt vmcnt(2)
	v_mul_u32_u24_e32 v52, 0x10001, v52
	v_lshrrev_b32_e32 v227, 16, v226
	v_cvt_f16_i16_sdwa v226, sext(v226) dst_sel:DWORD dst_unused:UNUSED_PAD src0_sel:BYTE_0
	s_waitcnt vmcnt(1)
	v_mul_u32_u24_e32 v50, 0x10001, v50
	v_cvt_f16_i16_sdwa v227, sext(v227) dst_sel:DWORD dst_unused:UNUSED_PAD src0_sel:BYTE_0
	v_pack_b32_f16 v226, v226, v227
	v_pk_mul_f16 v227, v53, v50
	v_pk_mul_f16 v226, v226, v50
	s_waitcnt vmcnt(0)
	v_pk_lshrrev_b16 v50, 8, v51 op_sel:[1,0] op_sel_hi:[0,0]
	v_pk_lshrrev_b16 v51, 8, v51 op_sel:[1,1] op_sel_hi:[0,1]
	v_lshrrev_b32_e32 v53, 16, v50
	v_cvt_f16_i16_sdwa v50, sext(v50) dst_sel:DWORD dst_unused:UNUSED_PAD src0_sel:BYTE_0
	v_cvt_f16_i16_sdwa v53, sext(v53) dst_sel:DWORD dst_unused:UNUSED_PAD src0_sel:BYTE_0
	v_pack_b32_f16 v50, v50, v53
	v_lshrrev_b32_e32 v53, 16, v51
	v_cvt_f16_i16_sdwa v51, sext(v51) dst_sel:DWORD dst_unused:UNUSED_PAD src0_sel:BYTE_0
	v_pk_mul_f16 v228, v50, v52
	v_cvt_f16_i16_sdwa v53, sext(v53) dst_sel:DWORD dst_unused:UNUSED_PAD src0_sel:BYTE_0
	v_pack_b32_f16 v51, v51, v53
	v_mul_u32_u24_sdwa v53, v38, v217 dst_sel:DWORD dst_unused:UNUSED_PAD src0_sel:WORD_0 src1_sel:DWORD
	v_mul_u32_u24_sdwa v38, v38, v217 dst_sel:DWORD dst_unused:UNUSED_PAD src0_sel:WORD_1 src1_sel:DWORD
	v_pk_mul_f16 v231, v51, v52
	v_pk_fma_f16 v50, v227, v53, v42
	v_pk_fma_f16 v51, v226, v53, v43
	v_pk_fma_f16 v52, v228, v53, v44
	v_pk_fma_f16 v53, v231, v53, v45
	v_mul_u32_u24_sdwa v45, v34, v217 dst_sel:DWORD dst_unused:UNUSED_PAD src0_sel:WORD_0 src1_sel:DWORD
	v_mul_u32_u24_sdwa v34, v34, v217 dst_sel:DWORD dst_unused:UNUSED_PAD src0_sel:WORD_1 src1_sel:DWORD
	v_pk_fma_f16 v42, v227, v45, v46
	v_add_co_u32 v46, vcc_lo, v126, v175
	v_pk_fma_f16 v43, v226, v45, v47
	v_pk_fma_f16 v44, v228, v45, v48
	v_add_co_ci_u32_e64 v47, null, 0, v127, vcc_lo
	v_add_co_u32 v48, vcc_lo, v128, v177
	v_pk_fma_f16 v45, v231, v45, v49
	v_add_co_ci_u32_e64 v49, null, 0, v129, vcc_lo
	s_clause 0x1
	global_load_dword v46, v[46:47], off offset:2
	global_load_dword v47, v[48:49], off offset:2
	ds_write_b128 v135, v[50:53]
	ds_write_b128 v135, v[42:45] offset:16
	s_waitcnt vmcnt(1)
	v_pk_lshrrev_b16 v48, 8, v46 op_sel:[1,0] op_sel_hi:[0,0]
	v_pk_lshrrev_b16 v46, 8, v46 op_sel:[1,1] op_sel_hi:[0,1]
	v_lshrrev_b32_e32 v49, 16, v48
	v_cvt_f16_i16_sdwa v48, sext(v48) dst_sel:DWORD dst_unused:UNUSED_PAD src0_sel:BYTE_0
	v_cvt_f16_i16_sdwa v49, sext(v49) dst_sel:DWORD dst_unused:UNUSED_PAD src0_sel:BYTE_0
	v_pack_b32_f16 v48, v48, v49
	v_lshrrev_b32_e32 v49, 16, v46
	v_cvt_f16_i16_sdwa v46, sext(v46) dst_sel:DWORD dst_unused:UNUSED_PAD src0_sel:BYTE_0
	v_cvt_f16_i16_sdwa v49, sext(v49) dst_sel:DWORD dst_unused:UNUSED_PAD src0_sel:BYTE_0
	v_pack_b32_f16 v46, v46, v49
	v_mul_u32_u24_e32 v49, 0x10001, v230
	v_pk_mul_f16 v127, v46, v49
	s_waitcnt vmcnt(0)
	v_pk_lshrrev_b16 v46, 8, v47 op_sel:[1,0] op_sel_hi:[0,0]
	v_pk_mul_f16 v126, v48, v49
	v_pk_lshrrev_b16 v47, 8, v47 op_sel:[1,1] op_sel_hi:[0,1]
	v_lshrrev_b32_e32 v48, 16, v46
	v_cvt_f16_i16_sdwa v46, sext(v46) dst_sel:DWORD dst_unused:UNUSED_PAD src0_sel:BYTE_0
	v_cvt_f16_i16_sdwa v48, sext(v48) dst_sel:DWORD dst_unused:UNUSED_PAD src0_sel:BYTE_0
	v_pack_b32_f16 v46, v46, v48
	v_lshrrev_b32_e32 v48, 16, v47
	v_cvt_f16_i16_sdwa v47, sext(v47) dst_sel:DWORD dst_unused:UNUSED_PAD src0_sel:BYTE_0
	v_cvt_f16_i16_sdwa v48, sext(v48) dst_sel:DWORD dst_unused:UNUSED_PAD src0_sel:BYTE_0
	v_pack_b32_f16 v47, v47, v48
	v_mul_u32_u24_e32 v48, 0x10001, v229
	v_pk_mul_f16 v128, v46, v48
	v_pk_mul_f16 v129, v47, v48
	v_pk_fma_f16 v46, v126, v38, v50
	v_pk_fma_f16 v47, v127, v38, v51
	;; [unrolled: 1-line block ×8, first 2 shown]
	v_add_co_u32 v34, vcc_lo, s5, v148
	v_add_co_ci_u32_e64 v38, null, s11, v190, vcc_lo
	v_add_co_u32 v42, vcc_lo, v34, v223
	v_add_co_ci_u32_e64 v43, null, v38, v222, vcc_lo
	v_add_co_u32 v44, vcc_lo, v42, v175
	v_add_co_ci_u32_e64 v45, null, 0, v43, vcc_lo
	global_load_dword v228, v[44:45], off offset:2
	v_add_co_u32 v44, vcc_lo, v34, v225
	v_add_co_ci_u32_e64 v45, null, v38, v224, vcc_lo
	v_add_co_u32 v34, vcc_lo, s5, v149
	v_add_co_ci_u32_e64 v38, null, s11, v191, vcc_lo
	;; [unrolled: 2-line block ×5, first 2 shown]
	s_clause 0x4
	global_load_ushort v34, v[128:129], off
	global_load_ushort v38, v[126:127], off
	global_load_ushort v44, v[44:45], off
	global_load_ushort v42, v[42:43], off
	global_load_dword v43, v[226:227], off offset:2
	ds_write_b128 v135, v[46:49]
	ds_write_b128 v135, v[50:53] offset:16
	s_waitcnt vmcnt(5)
	v_pk_lshrrev_b16 v45, 8, v228 op_sel:[1,0] op_sel_hi:[0,0]
	v_lshrrev_b32_e32 v226, 16, v45
	v_cvt_f16_i16_sdwa v45, sext(v45) dst_sel:DWORD dst_unused:UNUSED_PAD src0_sel:BYTE_0
	v_cvt_f16_i16_sdwa v226, sext(v226) dst_sel:DWORD dst_unused:UNUSED_PAD src0_sel:BYTE_0
	v_pack_b32_f16 v45, v45, v226
	v_pk_lshrrev_b16 v226, 8, v228 op_sel:[1,1] op_sel_hi:[0,1]
	s_waitcnt vmcnt(4)
	v_mul_u32_u24_e32 v34, 0x10001, v34
	s_waitcnt vmcnt(3)
	v_mul_u32_u24_e32 v38, 0x10001, v38
	;; [unrolled: 2-line block ×3, first 2 shown]
	v_lshrrev_b32_e32 v227, 16, v226
	v_cvt_f16_i16_sdwa v226, sext(v226) dst_sel:DWORD dst_unused:UNUSED_PAD src0_sel:BYTE_0
	s_waitcnt vmcnt(1)
	v_mul_u32_u24_e32 v42, 0x10001, v42
	v_cvt_f16_i16_sdwa v227, sext(v227) dst_sel:DWORD dst_unused:UNUSED_PAD src0_sel:BYTE_0
	v_pack_b32_f16 v226, v226, v227
	v_pk_mul_f16 v227, v45, v42
	v_pk_mul_f16 v226, v226, v42
	s_waitcnt vmcnt(0)
	v_pk_lshrrev_b16 v42, 8, v43 op_sel:[1,0] op_sel_hi:[0,0]
	v_pk_lshrrev_b16 v43, 8, v43 op_sel:[1,1] op_sel_hi:[0,1]
	v_lshrrev_b32_e32 v45, 16, v42
	v_cvt_f16_i16_sdwa v42, sext(v42) dst_sel:DWORD dst_unused:UNUSED_PAD src0_sel:BYTE_0
	v_cvt_f16_i16_sdwa v45, sext(v45) dst_sel:DWORD dst_unused:UNUSED_PAD src0_sel:BYTE_0
	v_pack_b32_f16 v42, v42, v45
	v_lshrrev_b32_e32 v45, 16, v43
	v_cvt_f16_i16_sdwa v43, sext(v43) dst_sel:DWORD dst_unused:UNUSED_PAD src0_sel:BYTE_0
	v_pk_mul_f16 v228, v42, v44
	v_cvt_f16_i16_sdwa v45, sext(v45) dst_sel:DWORD dst_unused:UNUSED_PAD src0_sel:BYTE_0
	v_pack_b32_f16 v43, v43, v45
	v_mul_u32_u24_sdwa v45, v39, v217 dst_sel:DWORD dst_unused:UNUSED_PAD src0_sel:WORD_0 src1_sel:DWORD
	v_mul_u32_u24_sdwa v39, v39, v217 dst_sel:DWORD dst_unused:UNUSED_PAD src0_sel:WORD_1 src1_sel:DWORD
	v_pk_mul_f16 v229, v43, v44
	v_pk_fma_f16 v42, v227, v45, v46
	v_pk_fma_f16 v43, v226, v45, v47
	;; [unrolled: 1-line block ×4, first 2 shown]
	v_mul_u32_u24_sdwa v49, v35, v217 dst_sel:DWORD dst_unused:UNUSED_PAD src0_sel:WORD_0 src1_sel:DWORD
	v_mul_u32_u24_sdwa v35, v35, v217 dst_sel:DWORD dst_unused:UNUSED_PAD src0_sel:WORD_1 src1_sel:DWORD
	v_pk_fma_f16 v46, v227, v49, v50
	v_add_co_u32 v50, vcc_lo, v126, v175
	v_pk_fma_f16 v47, v226, v49, v51
	v_pk_fma_f16 v48, v228, v49, v52
	v_add_co_ci_u32_e64 v51, null, 0, v127, vcc_lo
	v_add_co_u32 v52, vcc_lo, v128, v177
	v_pk_fma_f16 v49, v229, v49, v53
	v_add_co_ci_u32_e64 v53, null, 0, v129, vcc_lo
	s_clause 0x1
	global_load_dword v50, v[50:51], off offset:2
	global_load_dword v51, v[52:53], off offset:2
	ds_write_b128 v135, v[42:45]
	ds_write_b128 v135, v[46:49] offset:16
	s_waitcnt vmcnt(1)
	v_pk_lshrrev_b16 v52, 8, v50 op_sel:[1,0] op_sel_hi:[0,0]
	v_pk_lshrrev_b16 v50, 8, v50 op_sel:[1,1] op_sel_hi:[0,1]
	v_lshrrev_b32_e32 v53, 16, v52
	v_cvt_f16_i16_sdwa v52, sext(v52) dst_sel:DWORD dst_unused:UNUSED_PAD src0_sel:BYTE_0
	v_cvt_f16_i16_sdwa v53, sext(v53) dst_sel:DWORD dst_unused:UNUSED_PAD src0_sel:BYTE_0
	v_pack_b32_f16 v52, v52, v53
	v_lshrrev_b32_e32 v53, 16, v50
	v_cvt_f16_i16_sdwa v50, sext(v50) dst_sel:DWORD dst_unused:UNUSED_PAD src0_sel:BYTE_0
	v_pk_mul_f16 v126, v52, v38
	v_cvt_f16_i16_sdwa v53, sext(v53) dst_sel:DWORD dst_unused:UNUSED_PAD src0_sel:BYTE_0
	v_pack_b32_f16 v50, v50, v53
	v_pk_mul_f16 v38, v50, v38
	s_waitcnt vmcnt(0)
	v_pk_lshrrev_b16 v50, 8, v51 op_sel:[1,0] op_sel_hi:[0,0]
	v_pk_lshrrev_b16 v51, 8, v51 op_sel:[1,1] op_sel_hi:[0,1]
	v_lshrrev_b32_e32 v52, 16, v50
	v_cvt_f16_i16_sdwa v50, sext(v50) dst_sel:DWORD dst_unused:UNUSED_PAD src0_sel:BYTE_0
	v_cvt_f16_i16_sdwa v52, sext(v52) dst_sel:DWORD dst_unused:UNUSED_PAD src0_sel:BYTE_0
	v_pack_b32_f16 v50, v50, v52
	v_lshrrev_b32_e32 v52, 16, v51
	v_cvt_f16_i16_sdwa v51, sext(v51) dst_sel:DWORD dst_unused:UNUSED_PAD src0_sel:BYTE_0
	v_pk_mul_f16 v127, v50, v34
	v_cvt_f16_i16_sdwa v52, sext(v52) dst_sel:DWORD dst_unused:UNUSED_PAD src0_sel:BYTE_0
	v_pk_fma_f16 v50, v126, v39, v42
	v_pk_fma_f16 v42, v126, v35, v46
	v_add_co_u32 v46, vcc_lo, s5, v150
	v_pack_b32_f16 v51, v51, v52
	v_pk_fma_f16 v52, v127, v39, v44
	v_pk_fma_f16 v44, v127, v35, v48
	v_pk_mul_f16 v34, v51, v34
	v_pk_fma_f16 v51, v38, v39, v43
	v_pk_fma_f16 v43, v38, v35, v47
	v_add_co_ci_u32_e64 v47, null, s11, v192, vcc_lo
	v_pk_fma_f16 v53, v34, v39, v45
	v_pk_fma_f16 v45, v34, v35, v49
	v_add_co_u32 v34, vcc_lo, v46, v223
	v_add_co_ci_u32_e64 v35, null, v47, v222, vcc_lo
	v_add_co_u32 v38, vcc_lo, v34, v175
	v_add_co_ci_u32_e64 v39, null, 0, v35, vcc_lo
	global_load_dword v48, v[38:39], off offset:2
	v_add_co_u32 v38, vcc_lo, v46, v225
	v_add_co_ci_u32_e64 v39, null, v47, v224, vcc_lo
	v_add_co_u32 v46, vcc_lo, s5, v152
	v_add_co_ci_u32_e64 v47, null, s11, v193, vcc_lo
	;; [unrolled: 2-line block ×5, first 2 shown]
	s_clause 0x4
	global_load_ushort v226, v[128:129], off
	global_load_ushort v227, v[126:127], off
	;; [unrolled: 1-line block ×4, first 2 shown]
	global_load_dword v35, v[46:47], off offset:2
	ds_write_b128 v135, v[50:53]
	ds_write_b128 v135, v[42:45] offset:16
	s_waitcnt vmcnt(5)
	v_pk_lshrrev_b16 v39, 8, v48 op_sel:[1,0] op_sel_hi:[0,0]
	v_lshrrev_b32_e32 v46, 16, v39
	v_cvt_f16_i16_sdwa v39, sext(v39) dst_sel:DWORD dst_unused:UNUSED_PAD src0_sel:BYTE_0
	v_cvt_f16_i16_sdwa v46, sext(v46) dst_sel:DWORD dst_unused:UNUSED_PAD src0_sel:BYTE_0
	v_pack_b32_f16 v39, v39, v46
	v_pk_lshrrev_b16 v46, 8, v48 op_sel:[1,1] op_sel_hi:[0,1]
	s_waitcnt vmcnt(2)
	v_mul_u32_u24_e32 v38, 0x10001, v38
	v_lshrrev_b32_e32 v47, 16, v46
	v_cvt_f16_i16_sdwa v46, sext(v46) dst_sel:DWORD dst_unused:UNUSED_PAD src0_sel:BYTE_0
	s_waitcnt vmcnt(1)
	v_mul_u32_u24_e32 v34, 0x10001, v34
	v_cvt_f16_i16_sdwa v47, sext(v47) dst_sel:DWORD dst_unused:UNUSED_PAD src0_sel:BYTE_0
	v_pk_mul_f16 v39, v39, v34
	v_pack_b32_f16 v46, v46, v47
	v_pk_mul_f16 v34, v46, v34
	s_waitcnt vmcnt(0)
	v_pk_lshrrev_b16 v46, 8, v35 op_sel:[1,0] op_sel_hi:[0,0]
	v_pk_lshrrev_b16 v35, 8, v35 op_sel:[1,1] op_sel_hi:[0,1]
	v_lshrrev_b32_e32 v47, 16, v46
	v_cvt_f16_i16_sdwa v46, sext(v46) dst_sel:DWORD dst_unused:UNUSED_PAD src0_sel:BYTE_0
	v_cvt_f16_i16_sdwa v47, sext(v47) dst_sel:DWORD dst_unused:UNUSED_PAD src0_sel:BYTE_0
	v_pack_b32_f16 v46, v46, v47
	v_lshrrev_b32_e32 v47, 16, v35
	v_cvt_f16_i16_sdwa v35, sext(v35) dst_sel:DWORD dst_unused:UNUSED_PAD src0_sel:BYTE_0
	v_pk_mul_f16 v228, v46, v38
	v_cvt_f16_i16_sdwa v47, sext(v47) dst_sel:DWORD dst_unused:UNUSED_PAD src0_sel:BYTE_0
	v_pack_b32_f16 v35, v35, v47
	v_pk_mul_f16 v35, v35, v38
	v_mul_u32_u24_sdwa v38, v40, v217 dst_sel:DWORD dst_unused:UNUSED_PAD src0_sel:WORD_0 src1_sel:DWORD
	v_mul_u32_u24_sdwa v40, v40, v217 dst_sel:DWORD dst_unused:UNUSED_PAD src0_sel:WORD_1 src1_sel:DWORD
	v_pk_fma_f16 v46, v39, v38, v50
	v_pk_fma_f16 v47, v34, v38, v51
	;; [unrolled: 1-line block ×4, first 2 shown]
	v_mul_u32_u24_sdwa v38, v36, v217 dst_sel:DWORD dst_unused:UNUSED_PAD src0_sel:WORD_0 src1_sel:DWORD
	v_mul_u32_u24_sdwa v36, v36, v217 dst_sel:DWORD dst_unused:UNUSED_PAD src0_sel:WORD_1 src1_sel:DWORD
	v_pk_fma_f16 v51, v34, v38, v43
	v_add_co_u32 v34, vcc_lo, v126, v175
	v_pk_fma_f16 v50, v39, v38, v42
	v_pk_fma_f16 v52, v228, v38, v44
	;; [unrolled: 1-line block ×3, first 2 shown]
	v_add_co_ci_u32_e64 v35, null, 0, v127, vcc_lo
	v_add_co_u32 v38, vcc_lo, v128, v177
	v_add_co_ci_u32_e64 v39, null, 0, v129, vcc_lo
	s_clause 0x1
	global_load_dword v34, v[34:35], off offset:2
	global_load_dword v35, v[38:39], off offset:2
	ds_write_b128 v135, v[46:49]
	ds_write_b128 v135, v[50:53] offset:16
	s_waitcnt vmcnt(1)
	v_pk_lshrrev_b16 v38, 8, v34 op_sel:[1,0] op_sel_hi:[0,0]
	v_pk_lshrrev_b16 v34, 8, v34 op_sel:[1,1] op_sel_hi:[0,1]
	v_lshrrev_b32_e32 v39, 16, v38
	v_cvt_f16_i16_sdwa v38, sext(v38) dst_sel:DWORD dst_unused:UNUSED_PAD src0_sel:BYTE_0
	v_cvt_f16_i16_sdwa v39, sext(v39) dst_sel:DWORD dst_unused:UNUSED_PAD src0_sel:BYTE_0
	v_pack_b32_f16 v38, v38, v39
	v_lshrrev_b32_e32 v39, 16, v34
	v_cvt_f16_i16_sdwa v34, sext(v34) dst_sel:DWORD dst_unused:UNUSED_PAD src0_sel:BYTE_0
	v_cvt_f16_i16_sdwa v39, sext(v39) dst_sel:DWORD dst_unused:UNUSED_PAD src0_sel:BYTE_0
	v_pack_b32_f16 v34, v34, v39
	v_mul_u32_u24_e32 v39, 0x10001, v227
	v_pk_mul_f16 v38, v38, v39
	v_pk_mul_f16 v34, v34, v39
	s_waitcnt vmcnt(0)
	v_pk_lshrrev_b16 v39, 8, v35 op_sel:[1,0] op_sel_hi:[0,0]
	v_pk_lshrrev_b16 v35, 8, v35 op_sel:[1,1] op_sel_hi:[0,1]
	v_pk_fma_f16 v43, v34, v40, v47
	v_lshrrev_b32_e32 v42, 16, v39
	v_cvt_f16_i16_sdwa v39, sext(v39) dst_sel:DWORD dst_unused:UNUSED_PAD src0_sel:BYTE_0
	v_pk_fma_f16 v47, v34, v36, v51
	v_cvt_f16_i16_sdwa v42, sext(v42) dst_sel:DWORD dst_unused:UNUSED_PAD src0_sel:BYTE_0
	v_pack_b32_f16 v39, v39, v42
	v_lshrrev_b32_e32 v42, 16, v35
	v_cvt_f16_i16_sdwa v35, sext(v35) dst_sel:DWORD dst_unused:UNUSED_PAD src0_sel:BYTE_0
	v_cvt_f16_i16_sdwa v42, sext(v42) dst_sel:DWORD dst_unused:UNUSED_PAD src0_sel:BYTE_0
	v_pack_b32_f16 v35, v35, v42
	v_mul_u32_u24_e32 v42, 0x10001, v226
	v_pk_mul_f16 v39, v39, v42
	v_pk_mul_f16 v35, v35, v42
	v_pk_fma_f16 v42, v38, v40, v46
	v_pk_fma_f16 v46, v38, v36, v50
	;; [unrolled: 1-line block ×6, first 2 shown]
	v_add_co_u32 v36, vcc_lo, s5, v154
	v_add_co_ci_u32_e64 v40, null, s11, v195, vcc_lo
	v_add_co_u32 v34, vcc_lo, v36, v223
	v_add_co_ci_u32_e64 v35, null, v40, v222, vcc_lo
	;; [unrolled: 2-line block ×3, first 2 shown]
	global_load_dword v52, v[38:39], off offset:2
	v_add_co_u32 v38, vcc_lo, v36, v225
	v_add_co_ci_u32_e64 v39, null, v40, v224, vcc_lo
	v_add_co_u32 v36, vcc_lo, s5, v156
	v_add_co_ci_u32_e64 v40, null, s11, v196, vcc_lo
	;; [unrolled: 2-line block ×5, first 2 shown]
	s_clause 0x4
	global_load_ushort v36, v[228:229], off
	global_load_ushort v40, v[226:227], off
	;; [unrolled: 1-line block ×4, first 2 shown]
	global_load_dword v35, v[50:51], off offset:2
	ds_write_b128 v135, v[42:45]
	ds_write_b128 v135, v[46:49] offset:16
	s_waitcnt vmcnt(5)
	v_pk_lshrrev_b16 v39, 8, v52 op_sel:[1,0] op_sel_hi:[0,0]
	v_lshrrev_b32_e32 v50, 16, v39
	v_cvt_f16_i16_sdwa v39, sext(v39) dst_sel:DWORD dst_unused:UNUSED_PAD src0_sel:BYTE_0
	v_cvt_f16_i16_sdwa v50, sext(v50) dst_sel:DWORD dst_unused:UNUSED_PAD src0_sel:BYTE_0
	v_pack_b32_f16 v39, v39, v50
	v_pk_lshrrev_b16 v50, 8, v52 op_sel:[1,1] op_sel_hi:[0,1]
	s_waitcnt vmcnt(4)
	v_mul_u32_u24_e32 v36, 0x10001, v36
	s_waitcnt vmcnt(2)
	v_mul_u32_u24_e32 v38, 0x10001, v38
	v_lshrrev_b32_e32 v51, 16, v50
	v_cvt_f16_i16_sdwa v50, sext(v50) dst_sel:DWORD dst_unused:UNUSED_PAD src0_sel:BYTE_0
	s_waitcnt vmcnt(1)
	v_mul_u32_u24_e32 v34, 0x10001, v34
	v_cvt_f16_i16_sdwa v51, sext(v51) dst_sel:DWORD dst_unused:UNUSED_PAD src0_sel:BYTE_0
	v_pk_mul_f16 v39, v39, v34
	v_pack_b32_f16 v50, v50, v51
	v_pk_mul_f16 v34, v50, v34
	s_waitcnt vmcnt(0)
	v_pk_lshrrev_b16 v50, 8, v35 op_sel:[1,0] op_sel_hi:[0,0]
	v_pk_lshrrev_b16 v35, 8, v35 op_sel:[1,1] op_sel_hi:[0,1]
	v_lshrrev_b32_e32 v51, 16, v50
	v_cvt_f16_i16_sdwa v50, sext(v50) dst_sel:DWORD dst_unused:UNUSED_PAD src0_sel:BYTE_0
	v_cvt_f16_i16_sdwa v51, sext(v51) dst_sel:DWORD dst_unused:UNUSED_PAD src0_sel:BYTE_0
	v_pack_b32_f16 v50, v50, v51
	v_lshrrev_b32_e32 v51, 16, v35
	v_cvt_f16_i16_sdwa v35, sext(v35) dst_sel:DWORD dst_unused:UNUSED_PAD src0_sel:BYTE_0
	v_pk_mul_f16 v128, v50, v38
	v_cvt_f16_i16_sdwa v51, sext(v51) dst_sel:DWORD dst_unused:UNUSED_PAD src0_sel:BYTE_0
	v_pack_b32_f16 v35, v35, v51
	v_pk_mul_f16 v35, v35, v38
	v_mul_u32_u24_sdwa v38, v41, v217 dst_sel:DWORD dst_unused:UNUSED_PAD src0_sel:WORD_0 src1_sel:DWORD
	v_mul_u32_u24_sdwa v41, v41, v217 dst_sel:DWORD dst_unused:UNUSED_PAD src0_sel:WORD_1 src1_sel:DWORD
	v_pk_fma_f16 v50, v39, v38, v42
	v_pk_fma_f16 v51, v34, v38, v43
	;; [unrolled: 1-line block ×4, first 2 shown]
	v_mul_u32_u24_sdwa v38, v37, v217 dst_sel:DWORD dst_unused:UNUSED_PAD src0_sel:WORD_0 src1_sel:DWORD
	v_pk_fma_f16 v127, v34, v38, v47
	v_add_co_u32 v34, vcc_lo, v226, v175
	v_pk_fma_f16 v126, v39, v38, v46
	v_pk_fma_f16 v128, v128, v38, v48
	v_pk_fma_f16 v129, v35, v38, v49
	v_add_co_ci_u32_e64 v35, null, 0, v227, vcc_lo
	v_add_co_u32 v38, vcc_lo, v228, v177
	v_add_co_ci_u32_e64 v39, null, 0, v229, vcc_lo
	s_clause 0x1
	global_load_dword v34, v[34:35], off offset:2
	global_load_dword v35, v[38:39], off offset:2
	v_add_co_u32 v46, vcc_lo, s5, v158
	v_add_co_ci_u32_e64 v47, null, s11, v197, vcc_lo
	ds_write_b128 v135, v[126:129] offset:16
	ds_write_b128 v135, v[50:53]
	s_waitcnt vmcnt(1)
	v_pk_lshrrev_b16 v38, 8, v34 op_sel:[1,0] op_sel_hi:[0,0]
	v_pk_lshrrev_b16 v34, 8, v34 op_sel:[1,1] op_sel_hi:[0,1]
	v_lshrrev_b32_e32 v39, 16, v38
	v_cvt_f16_i16_sdwa v38, sext(v38) dst_sel:DWORD dst_unused:UNUSED_PAD src0_sel:BYTE_0
	v_cvt_f16_i16_sdwa v39, sext(v39) dst_sel:DWORD dst_unused:UNUSED_PAD src0_sel:BYTE_0
	v_pack_b32_f16 v38, v38, v39
	v_lshrrev_b32_e32 v39, 16, v34
	v_cvt_f16_i16_sdwa v34, sext(v34) dst_sel:DWORD dst_unused:UNUSED_PAD src0_sel:BYTE_0
	v_cvt_f16_i16_sdwa v39, sext(v39) dst_sel:DWORD dst_unused:UNUSED_PAD src0_sel:BYTE_0
	v_pack_b32_f16 v34, v34, v39
	v_mul_u32_u24_e32 v39, 0x10001, v40
	v_pk_mul_f16 v38, v38, v39
	v_pk_mul_f16 v34, v34, v39
	s_waitcnt vmcnt(0)
	v_pk_lshrrev_b16 v39, 8, v35 op_sel:[1,0] op_sel_hi:[0,0]
	v_pk_lshrrev_b16 v35, 8, v35 op_sel:[1,1] op_sel_hi:[0,1]
	v_pk_fma_f16 v42, v38, v41, v50
	v_pk_fma_f16 v43, v34, v41, v51
	v_lshrrev_b32_e32 v40, 16, v39
	v_cvt_f16_i16_sdwa v39, sext(v39) dst_sel:DWORD dst_unused:UNUSED_PAD src0_sel:BYTE_0
	v_cvt_f16_i16_sdwa v40, sext(v40) dst_sel:DWORD dst_unused:UNUSED_PAD src0_sel:BYTE_0
	v_pack_b32_f16 v39, v39, v40
	v_lshrrev_b32_e32 v40, 16, v35
	v_cvt_f16_i16_sdwa v35, sext(v35) dst_sel:DWORD dst_unused:UNUSED_PAD src0_sel:BYTE_0
	v_cvt_f16_i16_sdwa v40, sext(v40) dst_sel:DWORD dst_unused:UNUSED_PAD src0_sel:BYTE_0
	v_pack_b32_f16 v35, v35, v40
	v_pk_mul_f16 v40, v39, v36
	v_pk_mul_f16 v35, v35, v36
	v_mul_u32_u24_sdwa v36, v37, v217 dst_sel:DWORD dst_unused:UNUSED_PAD src0_sel:WORD_1 src1_sel:DWORD
	v_pk_fma_f16 v44, v40, v41, v52
	v_pk_fma_f16 v45, v35, v41, v53
	;; [unrolled: 1-line block ×3, first 2 shown]
	v_add_co_u32 v34, vcc_lo, v46, v223
	v_pk_fma_f16 v41, v35, v36, v129
	v_add_co_ci_u32_e64 v35, null, v47, v222, vcc_lo
	v_pk_fma_f16 v38, v38, v36, v126
	v_pk_fma_f16 v40, v40, v36, v128
	v_add_co_u32 v36, vcc_lo, v34, v175
	v_add_co_ci_u32_e64 v37, null, 0, v35, vcc_lo
	global_load_dword v48, v[36:37], off offset:2
	v_add_co_u32 v36, vcc_lo, v46, v225
	v_add_co_ci_u32_e64 v37, null, v47, v224, vcc_lo
	v_add_co_u32 v46, vcc_lo, s5, v160
	v_add_co_ci_u32_e64 v47, null, s11, v198, vcc_lo
	;; [unrolled: 2-line block ×5, first 2 shown]
	s_clause 0x4
	global_load_ushort v226, v[128:129], off
	global_load_ushort v227, v[126:127], off
	;; [unrolled: 1-line block ×4, first 2 shown]
	global_load_dword v35, v[46:47], off offset:2
	s_waitcnt vmcnt(5)
	v_pk_lshrrev_b16 v37, 8, v48 op_sel:[1,0] op_sel_hi:[0,0]
	v_lshrrev_b32_e32 v46, 16, v37
	v_cvt_f16_i16_sdwa v37, sext(v37) dst_sel:DWORD dst_unused:UNUSED_PAD src0_sel:BYTE_0
	v_cvt_f16_i16_sdwa v46, sext(v46) dst_sel:DWORD dst_unused:UNUSED_PAD src0_sel:BYTE_0
	v_pack_b32_f16 v37, v37, v46
	v_pk_lshrrev_b16 v46, 8, v48 op_sel:[1,1] op_sel_hi:[0,1]
	s_waitcnt vmcnt(2)
	v_mul_u32_u24_e32 v36, 0x10001, v36
	v_lshrrev_b32_e32 v47, 16, v46
	v_cvt_f16_i16_sdwa v46, sext(v46) dst_sel:DWORD dst_unused:UNUSED_PAD src0_sel:BYTE_0
	s_waitcnt vmcnt(1)
	v_mul_u32_u24_e32 v34, 0x10001, v34
	v_cvt_f16_i16_sdwa v47, sext(v47) dst_sel:DWORD dst_unused:UNUSED_PAD src0_sel:BYTE_0
	v_pk_mul_f16 v228, v37, v34
	v_pack_b32_f16 v46, v46, v47
	v_pk_mul_f16 v229, v46, v34
	s_waitcnt vmcnt(0)
	v_pk_lshrrev_b16 v34, 8, v35 op_sel:[1,0] op_sel_hi:[0,0]
	v_pk_lshrrev_b16 v35, 8, v35 op_sel:[1,1] op_sel_hi:[0,1]
	ds_read_b128 v[46:49], v171 offset:32
	ds_read_b128 v[50:53], v171 offset:48
	ds_write_b128 v135, v[42:45]
	v_lshrrev_b32_e32 v37, 16, v34
	v_cvt_f16_i16_sdwa v34, sext(v34) dst_sel:DWORD dst_unused:UNUSED_PAD src0_sel:BYTE_0
	v_cvt_f16_i16_sdwa v37, sext(v37) dst_sel:DWORD dst_unused:UNUSED_PAD src0_sel:BYTE_0
	v_pack_b32_f16 v34, v34, v37
	v_lshrrev_b32_e32 v37, 16, v35
	v_cvt_f16_i16_sdwa v35, sext(v35) dst_sel:DWORD dst_unused:UNUSED_PAD src0_sel:BYTE_0
	v_pk_mul_f16 v230, v34, v36
	v_cvt_f16_i16_sdwa v37, sext(v37) dst_sel:DWORD dst_unused:UNUSED_PAD src0_sel:BYTE_0
	s_waitcnt lgkmcnt(2)
	v_mul_u32_u24_sdwa v34, v46, v217 dst_sel:DWORD dst_unused:UNUSED_PAD src0_sel:WORD_0 src1_sel:DWORD
	v_pack_b32_f16 v35, v35, v37
	v_pk_fma_f16 v232, v228, v34, v42
	v_pk_fma_f16 v233, v229, v34, v43
	;; [unrolled: 1-line block ×3, first 2 shown]
	v_pk_mul_f16 v231, v35, v36
	v_pk_fma_f16 v235, v231, v34, v45
	ds_read_b128 v[42:45], v171 offset:288
	ds_read_b128 v[34:37], v171 offset:304
	ds_write_b128 v135, v[38:41] offset:16
	s_waitcnt lgkmcnt(2)
	v_mul_u32_u24_sdwa v236, v42, v217 dst_sel:DWORD dst_unused:UNUSED_PAD src0_sel:WORD_0 src1_sel:DWORD
	v_mul_u32_u24_sdwa v42, v42, v217 dst_sel:DWORD dst_unused:UNUSED_PAD src0_sel:WORD_1 src1_sel:DWORD
	v_pk_fma_f16 v228, v228, v236, v38
	v_add_co_u32 v38, vcc_lo, v126, v175
	v_pk_fma_f16 v229, v229, v236, v39
	v_pk_fma_f16 v230, v230, v236, v40
	v_add_co_ci_u32_e64 v39, null, 0, v127, vcc_lo
	v_add_co_u32 v40, vcc_lo, v128, v177
	v_pk_fma_f16 v231, v231, v236, v41
	v_add_co_ci_u32_e64 v41, null, 0, v129, vcc_lo
	s_clause 0x1
	global_load_dword v38, v[38:39], off offset:2
	global_load_dword v39, v[40:41], off offset:2
	ds_write_b128 v135, v[228:231] offset:16
	ds_write_b128 v135, v[232:235]
	s_waitcnt vmcnt(1)
	v_pk_lshrrev_b16 v40, 8, v38 op_sel:[1,0] op_sel_hi:[0,0]
	v_pk_lshrrev_b16 v38, 8, v38 op_sel:[1,1] op_sel_hi:[0,1]
	v_lshrrev_b32_e32 v41, 16, v40
	v_cvt_f16_i16_sdwa v40, sext(v40) dst_sel:DWORD dst_unused:UNUSED_PAD src0_sel:BYTE_0
	v_cvt_f16_i16_sdwa v41, sext(v41) dst_sel:DWORD dst_unused:UNUSED_PAD src0_sel:BYTE_0
	v_pack_b32_f16 v40, v40, v41
	v_lshrrev_b32_e32 v41, 16, v38
	v_cvt_f16_i16_sdwa v38, sext(v38) dst_sel:DWORD dst_unused:UNUSED_PAD src0_sel:BYTE_0
	v_cvt_f16_i16_sdwa v41, sext(v41) dst_sel:DWORD dst_unused:UNUSED_PAD src0_sel:BYTE_0
	v_pack_b32_f16 v38, v38, v41
	v_mul_u32_u24_e32 v41, 0x10001, v227
	v_pk_mul_f16 v127, v38, v41
	s_waitcnt vmcnt(0)
	v_pk_lshrrev_b16 v38, 8, v39 op_sel:[1,0] op_sel_hi:[0,0]
	v_pk_mul_f16 v126, v40, v41
	v_pk_lshrrev_b16 v39, 8, v39 op_sel:[1,1] op_sel_hi:[0,1]
	v_mul_u32_u24_sdwa v41, v46, v217 dst_sel:DWORD dst_unused:UNUSED_PAD src0_sel:WORD_1 src1_sel:DWORD
	v_lshrrev_b32_e32 v40, 16, v38
	v_cvt_f16_i16_sdwa v38, sext(v38) dst_sel:DWORD dst_unused:UNUSED_PAD src0_sel:BYTE_0
	v_cvt_f16_i16_sdwa v40, sext(v40) dst_sel:DWORD dst_unused:UNUSED_PAD src0_sel:BYTE_0
	v_pack_b32_f16 v38, v38, v40
	v_lshrrev_b32_e32 v40, 16, v39
	v_cvt_f16_i16_sdwa v39, sext(v39) dst_sel:DWORD dst_unused:UNUSED_PAD src0_sel:BYTE_0
	v_cvt_f16_i16_sdwa v40, sext(v40) dst_sel:DWORD dst_unused:UNUSED_PAD src0_sel:BYTE_0
	v_pack_b32_f16 v39, v39, v40
	v_mul_u32_u24_e32 v40, 0x10001, v226
	v_pk_mul_f16 v128, v38, v40
	v_pk_mul_f16 v129, v39, v40
	v_pk_fma_f16 v38, v126, v41, v232
	v_pk_fma_f16 v39, v127, v41, v233
	;; [unrolled: 1-line block ×8, first 2 shown]
	v_add_co_u32 v42, vcc_lo, s5, v162
	v_add_co_ci_u32_e64 v46, null, s11, v200, vcc_lo
	v_add_co_u32 v226, vcc_lo, v42, v223
	v_add_co_ci_u32_e64 v227, null, v46, v222, vcc_lo
	;; [unrolled: 2-line block ×3, first 2 shown]
	global_load_dword v236, v[228:229], off offset:2
	v_add_co_u32 v228, vcc_lo, v42, v225
	v_add_co_ci_u32_e64 v229, null, v46, v224, vcc_lo
	v_add_co_u32 v42, vcc_lo, s5, v163
	v_add_co_ci_u32_e64 v46, null, s11, v201, vcc_lo
	;; [unrolled: 2-line block ×5, first 2 shown]
	s_clause 0x4
	global_load_ushort v42, v[232:233], off
	global_load_ushort v46, v[230:231], off
	;; [unrolled: 1-line block ×4, first 2 shown]
	global_load_dword v227, v[234:235], off offset:2
	ds_write_b128 v135, v[38:41]
	ds_write_b128 v135, v[126:129] offset:16
	s_waitcnt vmcnt(5)
	v_pk_lshrrev_b16 v229, 8, v236 op_sel:[1,0] op_sel_hi:[0,0]
	v_lshrrev_b32_e32 v234, 16, v229
	v_cvt_f16_i16_sdwa v229, sext(v229) dst_sel:DWORD dst_unused:UNUSED_PAD src0_sel:BYTE_0
	v_cvt_f16_i16_sdwa v234, sext(v234) dst_sel:DWORD dst_unused:UNUSED_PAD src0_sel:BYTE_0
	v_pack_b32_f16 v229, v229, v234
	v_pk_lshrrev_b16 v234, 8, v236 op_sel:[1,1] op_sel_hi:[0,1]
	s_waitcnt vmcnt(4)
	v_mul_u32_u24_e32 v42, 0x10001, v42
	s_waitcnt vmcnt(3)
	v_mul_u32_u24_e32 v46, 0x10001, v46
	;; [unrolled: 2-line block ×3, first 2 shown]
	v_lshrrev_b32_e32 v235, 16, v234
	v_cvt_f16_i16_sdwa v234, sext(v234) dst_sel:DWORD dst_unused:UNUSED_PAD src0_sel:BYTE_0
	s_waitcnt vmcnt(1)
	v_mul_u32_u24_e32 v226, 0x10001, v226
	v_cvt_f16_i16_sdwa v235, sext(v235) dst_sel:DWORD dst_unused:UNUSED_PAD src0_sel:BYTE_0
	v_pack_b32_f16 v234, v234, v235
	v_pk_mul_f16 v235, v229, v226
	v_pk_mul_f16 v234, v234, v226
	s_waitcnt vmcnt(0)
	v_pk_lshrrev_b16 v226, 8, v227 op_sel:[1,0] op_sel_hi:[0,0]
	v_pk_lshrrev_b16 v227, 8, v227 op_sel:[1,1] op_sel_hi:[0,1]
	v_lshrrev_b32_e32 v229, 16, v226
	v_cvt_f16_i16_sdwa v226, sext(v226) dst_sel:DWORD dst_unused:UNUSED_PAD src0_sel:BYTE_0
	v_cvt_f16_i16_sdwa v229, sext(v229) dst_sel:DWORD dst_unused:UNUSED_PAD src0_sel:BYTE_0
	v_pack_b32_f16 v226, v226, v229
	v_lshrrev_b32_e32 v229, 16, v227
	v_cvt_f16_i16_sdwa v227, sext(v227) dst_sel:DWORD dst_unused:UNUSED_PAD src0_sel:BYTE_0
	v_pk_mul_f16 v236, v226, v228
	v_cvt_f16_i16_sdwa v229, sext(v229) dst_sel:DWORD dst_unused:UNUSED_PAD src0_sel:BYTE_0
	v_pack_b32_f16 v227, v227, v229
	v_mul_u32_u24_sdwa v229, v47, v217 dst_sel:DWORD dst_unused:UNUSED_PAD src0_sel:WORD_0 src1_sel:DWORD
	v_mul_u32_u24_sdwa v47, v47, v217 dst_sel:DWORD dst_unused:UNUSED_PAD src0_sel:WORD_1 src1_sel:DWORD
	v_pk_mul_f16 v237, v227, v228
	v_pk_fma_f16 v226, v235, v229, v38
	v_pk_fma_f16 v227, v234, v229, v39
	;; [unrolled: 1-line block ×4, first 2 shown]
	v_mul_u32_u24_sdwa v41, v43, v217 dst_sel:DWORD dst_unused:UNUSED_PAD src0_sel:WORD_0 src1_sel:DWORD
	v_mul_u32_u24_sdwa v43, v43, v217 dst_sel:DWORD dst_unused:UNUSED_PAD src0_sel:WORD_1 src1_sel:DWORD
	v_pk_fma_f16 v38, v235, v41, v126
	v_add_co_u32 v126, vcc_lo, v230, v175
	v_pk_fma_f16 v39, v234, v41, v127
	v_pk_fma_f16 v40, v236, v41, v128
	v_add_co_ci_u32_e64 v127, null, 0, v231, vcc_lo
	v_add_co_u32 v128, vcc_lo, v232, v177
	v_pk_fma_f16 v41, v237, v41, v129
	v_add_co_ci_u32_e64 v129, null, 0, v233, vcc_lo
	s_clause 0x1
	global_load_dword v126, v[126:127], off offset:2
	global_load_dword v127, v[128:129], off offset:2
	ds_write_b128 v135, v[226:229]
	ds_write_b128 v135, v[38:41] offset:16
	s_waitcnt vmcnt(1)
	v_pk_lshrrev_b16 v128, 8, v126 op_sel:[1,0] op_sel_hi:[0,0]
	v_pk_lshrrev_b16 v126, 8, v126 op_sel:[1,1] op_sel_hi:[0,1]
	v_lshrrev_b32_e32 v129, 16, v128
	v_cvt_f16_i16_sdwa v128, sext(v128) dst_sel:DWORD dst_unused:UNUSED_PAD src0_sel:BYTE_0
	v_cvt_f16_i16_sdwa v129, sext(v129) dst_sel:DWORD dst_unused:UNUSED_PAD src0_sel:BYTE_0
	v_pack_b32_f16 v128, v128, v129
	v_lshrrev_b32_e32 v129, 16, v126
	v_cvt_f16_i16_sdwa v126, sext(v126) dst_sel:DWORD dst_unused:UNUSED_PAD src0_sel:BYTE_0
	v_pk_mul_f16 v230, v128, v46
	v_cvt_f16_i16_sdwa v129, sext(v129) dst_sel:DWORD dst_unused:UNUSED_PAD src0_sel:BYTE_0
	v_pack_b32_f16 v126, v126, v129
	v_pk_mul_f16 v46, v126, v46
	s_waitcnt vmcnt(0)
	v_pk_lshrrev_b16 v126, 8, v127 op_sel:[1,0] op_sel_hi:[0,0]
	v_pk_lshrrev_b16 v127, 8, v127 op_sel:[1,1] op_sel_hi:[0,1]
	v_lshrrev_b32_e32 v128, 16, v126
	v_cvt_f16_i16_sdwa v126, sext(v126) dst_sel:DWORD dst_unused:UNUSED_PAD src0_sel:BYTE_0
	v_cvt_f16_i16_sdwa v128, sext(v128) dst_sel:DWORD dst_unused:UNUSED_PAD src0_sel:BYTE_0
	v_pack_b32_f16 v126, v126, v128
	v_lshrrev_b32_e32 v128, 16, v127
	v_cvt_f16_i16_sdwa v127, sext(v127) dst_sel:DWORD dst_unused:UNUSED_PAD src0_sel:BYTE_0
	v_pk_mul_f16 v231, v126, v42
	v_cvt_f16_i16_sdwa v128, sext(v128) dst_sel:DWORD dst_unused:UNUSED_PAD src0_sel:BYTE_0
	v_pk_fma_f16 v126, v230, v47, v226
	v_pk_fma_f16 v226, v230, v43, v38
	v_pack_b32_f16 v127, v127, v128
	v_pk_fma_f16 v128, v231, v47, v228
	v_pk_fma_f16 v228, v231, v43, v40
	v_pk_mul_f16 v42, v127, v42
	v_pk_fma_f16 v127, v46, v47, v227
	v_pk_fma_f16 v227, v46, v43, v39
	;; [unrolled: 1-line block ×4, first 2 shown]
	v_add_co_u32 v42, vcc_lo, s5, v164
	v_add_co_ci_u32_e64 v43, null, s11, v202, vcc_lo
	v_add_co_u32 v38, vcc_lo, v42, v223
	v_add_co_ci_u32_e64 v39, null, v43, v222, vcc_lo
	;; [unrolled: 2-line block ×3, first 2 shown]
	global_load_dword v232, v[40:41], off offset:2
	v_add_co_u32 v40, vcc_lo, v42, v225
	v_add_co_ci_u32_e64 v41, null, v43, v224, vcc_lo
	v_add_co_u32 v46, vcc_lo, s5, v165
	v_add_co_ci_u32_e64 v47, null, s11, v203, vcc_lo
	;; [unrolled: 2-line block ×5, first 2 shown]
	s_clause 0x4
	global_load_ushort v233, v[46:47], off
	global_load_ushort v234, v[42:43], off
	;; [unrolled: 1-line block ×4, first 2 shown]
	global_load_dword v39, v[230:231], off offset:2
	v_add_co_u32 v42, vcc_lo, v42, v175
	v_add_co_ci_u32_e64 v43, null, 0, v43, vcc_lo
	v_add_co_u32 v46, vcc_lo, v46, v177
	v_add_co_ci_u32_e64 v47, null, 0, v47, vcc_lo
	ds_write_b128 v135, v[126:129]
	ds_write_b128 v135, v[226:229] offset:16
	s_clause 0x1
	global_load_dword v42, v[42:43], off offset:2
	global_load_dword v43, v[46:47], off offset:2
	s_waitcnt vmcnt(7)
	v_pk_lshrrev_b16 v41, 8, v232 op_sel:[1,0] op_sel_hi:[0,0]
	v_lshrrev_b32_e32 v230, 16, v41
	v_cvt_f16_i16_sdwa v41, sext(v41) dst_sel:DWORD dst_unused:UNUSED_PAD src0_sel:BYTE_0
	v_cvt_f16_i16_sdwa v230, sext(v230) dst_sel:DWORD dst_unused:UNUSED_PAD src0_sel:BYTE_0
	v_pack_b32_f16 v41, v41, v230
	v_pk_lshrrev_b16 v230, 8, v232 op_sel:[1,1] op_sel_hi:[0,1]
	s_waitcnt vmcnt(4)
	v_mul_u32_u24_e32 v40, 0x10001, v40
	v_lshrrev_b32_e32 v231, 16, v230
	v_cvt_f16_i16_sdwa v230, sext(v230) dst_sel:DWORD dst_unused:UNUSED_PAD src0_sel:BYTE_0
	s_waitcnt vmcnt(3)
	v_mul_u32_u24_e32 v38, 0x10001, v38
	v_cvt_f16_i16_sdwa v231, sext(v231) dst_sel:DWORD dst_unused:UNUSED_PAD src0_sel:BYTE_0
	v_pack_b32_f16 v230, v230, v231
	v_pk_mul_f16 v231, v41, v38
	s_waitcnt vmcnt(1)
	v_pk_lshrrev_b16 v46, 8, v42 op_sel:[1,0] op_sel_hi:[0,0]
	v_pk_lshrrev_b16 v42, 8, v42 op_sel:[1,1] op_sel_hi:[0,1]
	v_pk_mul_f16 v230, v230, v38
	v_pk_lshrrev_b16 v38, 8, v39 op_sel:[1,0] op_sel_hi:[0,0]
	v_pk_lshrrev_b16 v39, 8, v39 op_sel:[1,1] op_sel_hi:[0,1]
	v_lshrrev_b32_e32 v47, 16, v46
	v_cvt_f16_i16_sdwa v46, sext(v46) dst_sel:DWORD dst_unused:UNUSED_PAD src0_sel:BYTE_0
	v_lshrrev_b32_e32 v41, 16, v38
	v_cvt_f16_i16_sdwa v38, sext(v38) dst_sel:DWORD dst_unused:UNUSED_PAD src0_sel:BYTE_0
	v_cvt_f16_i16_sdwa v47, sext(v47) dst_sel:DWORD dst_unused:UNUSED_PAD src0_sel:BYTE_0
	;; [unrolled: 1-line block ×3, first 2 shown]
	v_pack_b32_f16 v46, v46, v47
	v_lshrrev_b32_e32 v47, 16, v42
	v_cvt_f16_i16_sdwa v42, sext(v42) dst_sel:DWORD dst_unused:UNUSED_PAD src0_sel:BYTE_0
	v_pack_b32_f16 v38, v38, v41
	v_lshrrev_b32_e32 v41, 16, v39
	v_cvt_f16_i16_sdwa v39, sext(v39) dst_sel:DWORD dst_unused:UNUSED_PAD src0_sel:BYTE_0
	v_cvt_f16_i16_sdwa v47, sext(v47) dst_sel:DWORD dst_unused:UNUSED_PAD src0_sel:BYTE_0
	v_pk_mul_f16 v232, v38, v40
	v_cvt_f16_i16_sdwa v41, sext(v41) dst_sel:DWORD dst_unused:UNUSED_PAD src0_sel:BYTE_0
	v_pack_b32_f16 v42, v42, v47
	v_mul_u32_u24_e32 v47, 0x10001, v234
	v_pack_b32_f16 v39, v39, v41
	v_mul_u32_u24_sdwa v41, v48, v217 dst_sel:DWORD dst_unused:UNUSED_PAD src0_sel:WORD_0 src1_sel:DWORD
	v_mul_u32_u24_sdwa v48, v48, v217 dst_sel:DWORD dst_unused:UNUSED_PAD src0_sel:WORD_1 src1_sel:DWORD
	v_pk_mul_f16 v46, v46, v47
	v_pk_mul_f16 v42, v42, v47
	;; [unrolled: 1-line block ×3, first 2 shown]
	v_pk_fma_f16 v38, v231, v41, v126
	v_pk_fma_f16 v39, v230, v41, v127
	;; [unrolled: 1-line block ×3, first 2 shown]
	s_waitcnt vmcnt(0)
	v_pk_lshrrev_b16 v47, 8, v43 op_sel:[1,0] op_sel_hi:[0,0]
	v_pk_fma_f16 v41, v235, v41, v129
	v_mul_u32_u24_sdwa v129, v44, v217 dst_sel:DWORD dst_unused:UNUSED_PAD src0_sel:WORD_0 src1_sel:DWORD
	v_pk_lshrrev_b16 v43, 8, v43 op_sel:[1,1] op_sel_hi:[0,1]
	ds_write_b128 v135, v[38:41]
	v_pk_fma_f16 v126, v231, v129, v226
	v_lshrrev_b32_e32 v226, 16, v47
	v_cvt_f16_i16_sdwa v47, sext(v47) dst_sel:DWORD dst_unused:UNUSED_PAD src0_sel:BYTE_0
	v_pk_fma_f16 v127, v230, v129, v227
	v_pk_fma_f16 v128, v232, v129, v228
	;; [unrolled: 1-line block ×3, first 2 shown]
	v_cvt_f16_i16_sdwa v226, sext(v226) dst_sel:DWORD dst_unused:UNUSED_PAD src0_sel:BYTE_0
	v_pk_fma_f16 v227, v42, v48, v39
	ds_write_b128 v135, v[126:129] offset:16
	v_pack_b32_f16 v47, v47, v226
	v_lshrrev_b32_e32 v226, 16, v43
	v_cvt_f16_i16_sdwa v43, sext(v43) dst_sel:DWORD dst_unused:UNUSED_PAD src0_sel:BYTE_0
	v_cvt_f16_i16_sdwa v226, sext(v226) dst_sel:DWORD dst_unused:UNUSED_PAD src0_sel:BYTE_0
	v_pack_b32_f16 v43, v43, v226
	v_mul_u32_u24_e32 v226, 0x10001, v233
	v_pk_mul_f16 v43, v43, v226
	v_pk_mul_f16 v47, v47, v226
	v_pk_fma_f16 v226, v46, v48, v38
	v_pk_fma_f16 v229, v43, v48, v41
	v_mul_u32_u24_sdwa v41, v44, v217 dst_sel:DWORD dst_unused:UNUSED_PAD src0_sel:WORD_1 src1_sel:DWORD
	v_add_co_u32 v44, vcc_lo, s5, v170
	v_pk_fma_f16 v228, v47, v48, v40
	v_add_co_ci_u32_e64 v48, null, s11, v205, vcc_lo
	v_pk_fma_f16 v39, v42, v41, v127
	v_add_co_u32 v42, vcc_lo, v44, v223
	v_pk_fma_f16 v38, v46, v41, v126
	v_pk_fma_f16 v40, v47, v41, v128
	;; [unrolled: 1-line block ×3, first 2 shown]
	v_add_co_ci_u32_e64 v43, null, v48, v222, vcc_lo
	v_add_co_u32 v46, vcc_lo, v42, v175
	v_add_co_ci_u32_e64 v47, null, 0, v43, vcc_lo
	global_load_dword v128, v[46:47], off offset:2
	v_add_co_u32 v46, vcc_lo, v44, v225
	v_add_co_ci_u32_e64 v47, null, v48, v224, vcc_lo
	v_add_co_u32 v44, vcc_lo, s5, v174
	v_add_co_ci_u32_e64 v48, null, s11, v206, vcc_lo
	;; [unrolled: 2-line block ×5, first 2 shown]
	s_clause 0x4
	global_load_ushort v44, v[232:233], off
	global_load_ushort v48, v[230:231], off
	;; [unrolled: 1-line block ×4, first 2 shown]
	global_load_dword v43, v[126:127], off offset:2
	ds_write_b128 v135, v[226:229]
	ds_write_b128 v135, v[38:41] offset:16
	s_waitcnt vmcnt(5)
	v_pk_lshrrev_b16 v47, 8, v128 op_sel:[1,0] op_sel_hi:[0,0]
	v_lshrrev_b32_e32 v126, 16, v47
	v_cvt_f16_i16_sdwa v47, sext(v47) dst_sel:DWORD dst_unused:UNUSED_PAD src0_sel:BYTE_0
	v_cvt_f16_i16_sdwa v126, sext(v126) dst_sel:DWORD dst_unused:UNUSED_PAD src0_sel:BYTE_0
	v_pack_b32_f16 v47, v47, v126
	v_pk_lshrrev_b16 v126, 8, v128 op_sel:[1,1] op_sel_hi:[0,1]
	s_waitcnt vmcnt(2)
	v_mul_u32_u24_e32 v46, 0x10001, v46
	v_lshrrev_b32_e32 v127, 16, v126
	v_cvt_f16_i16_sdwa v126, sext(v126) dst_sel:DWORD dst_unused:UNUSED_PAD src0_sel:BYTE_0
	s_waitcnt vmcnt(1)
	v_mul_u32_u24_e32 v42, 0x10001, v42
	v_cvt_f16_i16_sdwa v127, sext(v127) dst_sel:DWORD dst_unused:UNUSED_PAD src0_sel:BYTE_0
	v_pk_mul_f16 v47, v47, v42
	v_pack_b32_f16 v126, v126, v127
	v_pk_mul_f16 v42, v126, v42
	s_waitcnt vmcnt(0)
	v_pk_lshrrev_b16 v126, 8, v43 op_sel:[1,0] op_sel_hi:[0,0]
	v_pk_lshrrev_b16 v43, 8, v43 op_sel:[1,1] op_sel_hi:[0,1]
	v_lshrrev_b32_e32 v127, 16, v126
	v_cvt_f16_i16_sdwa v126, sext(v126) dst_sel:DWORD dst_unused:UNUSED_PAD src0_sel:BYTE_0
	v_cvt_f16_i16_sdwa v127, sext(v127) dst_sel:DWORD dst_unused:UNUSED_PAD src0_sel:BYTE_0
	v_pack_b32_f16 v126, v126, v127
	v_lshrrev_b32_e32 v127, 16, v43
	v_cvt_f16_i16_sdwa v43, sext(v43) dst_sel:DWORD dst_unused:UNUSED_PAD src0_sel:BYTE_0
	v_pk_mul_f16 v234, v126, v46
	v_cvt_f16_i16_sdwa v127, sext(v127) dst_sel:DWORD dst_unused:UNUSED_PAD src0_sel:BYTE_0
	v_pack_b32_f16 v43, v43, v127
	v_pk_mul_f16 v43, v43, v46
	v_mul_u32_u24_sdwa v46, v49, v217 dst_sel:DWORD dst_unused:UNUSED_PAD src0_sel:WORD_0 src1_sel:DWORD
	v_pk_fma_f16 v126, v47, v46, v226
	v_pk_fma_f16 v127, v42, v46, v227
	v_pk_fma_f16 v128, v234, v46, v228
	v_pk_fma_f16 v129, v43, v46, v229
	v_mul_u32_u24_sdwa v46, v45, v217 dst_sel:DWORD dst_unused:UNUSED_PAD src0_sel:WORD_0 src1_sel:DWORD
	v_mul_u32_u24_sdwa v45, v45, v217 dst_sel:DWORD dst_unused:UNUSED_PAD src0_sel:WORD_1 src1_sel:DWORD
	v_pk_fma_f16 v226, v47, v46, v38
	v_add_co_u32 v38, vcc_lo, v230, v175
	v_pk_fma_f16 v227, v42, v46, v39
	v_pk_fma_f16 v228, v234, v46, v40
	v_add_co_ci_u32_e64 v39, null, 0, v231, vcc_lo
	v_add_co_u32 v40, vcc_lo, v232, v177
	v_pk_fma_f16 v229, v43, v46, v41
	v_add_co_ci_u32_e64 v41, null, 0, v233, vcc_lo
	s_clause 0x1
	global_load_dword v38, v[38:39], off offset:2
	global_load_dword v39, v[40:41], off offset:2
	v_mul_u32_u24_sdwa v42, v49, v217 dst_sel:DWORD dst_unused:UNUSED_PAD src0_sel:WORD_1 src1_sel:DWORD
	ds_write_b128 v135, v[126:129]
	ds_write_b128 v135, v[226:229] offset:16
	s_waitcnt vmcnt(1)
	v_pk_lshrrev_b16 v40, 8, v38 op_sel:[1,0] op_sel_hi:[0,0]
	v_pk_lshrrev_b16 v38, 8, v38 op_sel:[1,1] op_sel_hi:[0,1]
	v_lshrrev_b32_e32 v41, 16, v40
	v_cvt_f16_i16_sdwa v40, sext(v40) dst_sel:DWORD dst_unused:UNUSED_PAD src0_sel:BYTE_0
	v_cvt_f16_i16_sdwa v41, sext(v41) dst_sel:DWORD dst_unused:UNUSED_PAD src0_sel:BYTE_0
	v_pack_b32_f16 v40, v40, v41
	v_lshrrev_b32_e32 v41, 16, v38
	v_cvt_f16_i16_sdwa v38, sext(v38) dst_sel:DWORD dst_unused:UNUSED_PAD src0_sel:BYTE_0
	v_cvt_f16_i16_sdwa v41, sext(v41) dst_sel:DWORD dst_unused:UNUSED_PAD src0_sel:BYTE_0
	v_pack_b32_f16 v38, v38, v41
	v_mul_u32_u24_e32 v41, 0x10001, v48
	v_pk_mul_f16 v46, v38, v41
	s_waitcnt vmcnt(0)
	v_pk_lshrrev_b16 v38, 8, v39 op_sel:[1,0] op_sel_hi:[0,0]
	v_pk_mul_f16 v43, v40, v41
	v_pk_lshrrev_b16 v39, 8, v39 op_sel:[1,1] op_sel_hi:[0,1]
	v_lshrrev_b32_e32 v40, 16, v38
	v_cvt_f16_i16_sdwa v38, sext(v38) dst_sel:DWORD dst_unused:UNUSED_PAD src0_sel:BYTE_0
	v_cvt_f16_i16_sdwa v40, sext(v40) dst_sel:DWORD dst_unused:UNUSED_PAD src0_sel:BYTE_0
	v_pack_b32_f16 v38, v38, v40
	v_lshrrev_b32_e32 v40, 16, v39
	v_cvt_f16_i16_sdwa v39, sext(v39) dst_sel:DWORD dst_unused:UNUSED_PAD src0_sel:BYTE_0
	v_cvt_f16_i16_sdwa v40, sext(v40) dst_sel:DWORD dst_unused:UNUSED_PAD src0_sel:BYTE_0
	v_pack_b32_f16 v39, v39, v40
	v_mul_u32_u24_e32 v40, 0x10001, v44
	v_pk_mul_f16 v44, v38, v40
	v_pk_mul_f16 v47, v39, v40
	v_pk_fma_f16 v38, v43, v42, v126
	v_add_co_u32 v126, vcc_lo, s5, v179
	v_pk_fma_f16 v39, v46, v42, v127
	v_add_co_ci_u32_e64 v127, null, s11, v207, vcc_lo
	v_pk_fma_f16 v40, v44, v42, v128
	v_pk_fma_f16 v41, v47, v42, v129
	;; [unrolled: 1-line block ×4, first 2 shown]
	v_add_co_u32 v46, vcc_lo, v126, v223
	v_pk_fma_f16 v44, v44, v45, v228
	v_pk_fma_f16 v45, v47, v45, v229
	v_add_co_ci_u32_e64 v47, null, v127, v222, vcc_lo
	v_add_co_u32 v48, vcc_lo, v46, v175
	v_add_co_ci_u32_e64 v49, null, 0, v47, vcc_lo
	global_load_dword v228, v[48:49], off offset:2
	v_add_co_u32 v48, vcc_lo, v126, v225
	v_add_co_ci_u32_e64 v49, null, v127, v224, vcc_lo
	v_add_co_u32 v128, vcc_lo, s5, v184
	v_add_co_ci_u32_e64 v129, null, s11, v208, vcc_lo
	;; [unrolled: 2-line block ×5, first 2 shown]
	s_clause 0x4
	global_load_ushort v229, v[128:129], off
	global_load_ushort v230, v[126:127], off
	;; [unrolled: 1-line block ×4, first 2 shown]
	global_load_dword v47, v[226:227], off offset:2
	ds_write_b128 v135, v[38:41]
	ds_write_b128 v135, v[42:45] offset:16
	s_waitcnt vmcnt(5)
	v_pk_lshrrev_b16 v49, 8, v228 op_sel:[1,0] op_sel_hi:[0,0]
	v_lshrrev_b32_e32 v226, 16, v49
	v_cvt_f16_i16_sdwa v49, sext(v49) dst_sel:DWORD dst_unused:UNUSED_PAD src0_sel:BYTE_0
	v_cvt_f16_i16_sdwa v226, sext(v226) dst_sel:DWORD dst_unused:UNUSED_PAD src0_sel:BYTE_0
	v_pack_b32_f16 v49, v49, v226
	v_pk_lshrrev_b16 v226, 8, v228 op_sel:[1,1] op_sel_hi:[0,1]
	s_waitcnt vmcnt(2)
	v_mul_u32_u24_e32 v48, 0x10001, v48
	v_lshrrev_b32_e32 v227, 16, v226
	v_cvt_f16_i16_sdwa v226, sext(v226) dst_sel:DWORD dst_unused:UNUSED_PAD src0_sel:BYTE_0
	s_waitcnt vmcnt(1)
	v_mul_u32_u24_e32 v46, 0x10001, v46
	v_cvt_f16_i16_sdwa v227, sext(v227) dst_sel:DWORD dst_unused:UNUSED_PAD src0_sel:BYTE_0
	v_pack_b32_f16 v226, v226, v227
	v_pk_mul_f16 v227, v49, v46
	v_pk_mul_f16 v226, v226, v46
	s_waitcnt vmcnt(0)
	v_pk_lshrrev_b16 v46, 8, v47 op_sel:[1,0] op_sel_hi:[0,0]
	v_pk_lshrrev_b16 v47, 8, v47 op_sel:[1,1] op_sel_hi:[0,1]
	v_lshrrev_b32_e32 v49, 16, v46
	v_cvt_f16_i16_sdwa v46, sext(v46) dst_sel:DWORD dst_unused:UNUSED_PAD src0_sel:BYTE_0
	v_cvt_f16_i16_sdwa v49, sext(v49) dst_sel:DWORD dst_unused:UNUSED_PAD src0_sel:BYTE_0
	v_pack_b32_f16 v46, v46, v49
	v_lshrrev_b32_e32 v49, 16, v47
	v_cvt_f16_i16_sdwa v47, sext(v47) dst_sel:DWORD dst_unused:UNUSED_PAD src0_sel:BYTE_0
	v_pk_mul_f16 v228, v46, v48
	v_cvt_f16_i16_sdwa v49, sext(v49) dst_sel:DWORD dst_unused:UNUSED_PAD src0_sel:BYTE_0
	v_pack_b32_f16 v47, v47, v49
	v_mul_u32_u24_sdwa v49, v50, v217 dst_sel:DWORD dst_unused:UNUSED_PAD src0_sel:WORD_0 src1_sel:DWORD
	v_pk_mul_f16 v231, v47, v48
	v_pk_fma_f16 v46, v227, v49, v38
	v_pk_fma_f16 v47, v226, v49, v39
	;; [unrolled: 1-line block ×4, first 2 shown]
	s_waitcnt lgkmcnt(17)
	v_mul_u32_u24_sdwa v41, v34, v217 dst_sel:DWORD dst_unused:UNUSED_PAD src0_sel:WORD_0 src1_sel:DWORD
	v_mul_u32_u24_sdwa v34, v34, v217 dst_sel:DWORD dst_unused:UNUSED_PAD src0_sel:WORD_1 src1_sel:DWORD
	v_pk_fma_f16 v38, v227, v41, v42
	v_add_co_u32 v42, vcc_lo, v126, v175
	v_pk_fma_f16 v39, v226, v41, v43
	v_pk_fma_f16 v40, v228, v41, v44
	v_add_co_ci_u32_e64 v43, null, 0, v127, vcc_lo
	v_add_co_u32 v44, vcc_lo, v128, v177
	v_pk_fma_f16 v41, v231, v41, v45
	v_add_co_ci_u32_e64 v45, null, 0, v129, vcc_lo
	s_clause 0x1
	global_load_dword v42, v[42:43], off offset:2
	global_load_dword v43, v[44:45], off offset:2
	ds_write_b128 v135, v[46:49]
	ds_write_b128 v135, v[38:41] offset:16
	s_waitcnt vmcnt(1)
	v_pk_lshrrev_b16 v44, 8, v42 op_sel:[1,0] op_sel_hi:[0,0]
	v_pk_lshrrev_b16 v42, 8, v42 op_sel:[1,1] op_sel_hi:[0,1]
	v_lshrrev_b32_e32 v45, 16, v44
	v_cvt_f16_i16_sdwa v44, sext(v44) dst_sel:DWORD dst_unused:UNUSED_PAD src0_sel:BYTE_0
	v_cvt_f16_i16_sdwa v45, sext(v45) dst_sel:DWORD dst_unused:UNUSED_PAD src0_sel:BYTE_0
	v_pack_b32_f16 v44, v44, v45
	v_lshrrev_b32_e32 v45, 16, v42
	v_cvt_f16_i16_sdwa v42, sext(v42) dst_sel:DWORD dst_unused:UNUSED_PAD src0_sel:BYTE_0
	v_cvt_f16_i16_sdwa v45, sext(v45) dst_sel:DWORD dst_unused:UNUSED_PAD src0_sel:BYTE_0
	v_pack_b32_f16 v42, v42, v45
	v_mul_u32_u24_e32 v45, 0x10001, v230
	v_pk_mul_f16 v127, v42, v45
	s_waitcnt vmcnt(0)
	v_pk_lshrrev_b16 v42, 8, v43 op_sel:[1,0] op_sel_hi:[0,0]
	v_pk_mul_f16 v126, v44, v45
	v_pk_lshrrev_b16 v43, 8, v43 op_sel:[1,1] op_sel_hi:[0,1]
	v_mul_u32_u24_sdwa v45, v50, v217 dst_sel:DWORD dst_unused:UNUSED_PAD src0_sel:WORD_1 src1_sel:DWORD
	v_lshrrev_b32_e32 v44, 16, v42
	v_cvt_f16_i16_sdwa v42, sext(v42) dst_sel:DWORD dst_unused:UNUSED_PAD src0_sel:BYTE_0
	v_cvt_f16_i16_sdwa v44, sext(v44) dst_sel:DWORD dst_unused:UNUSED_PAD src0_sel:BYTE_0
	v_pack_b32_f16 v42, v42, v44
	v_lshrrev_b32_e32 v44, 16, v43
	v_cvt_f16_i16_sdwa v43, sext(v43) dst_sel:DWORD dst_unused:UNUSED_PAD src0_sel:BYTE_0
	v_cvt_f16_i16_sdwa v44, sext(v44) dst_sel:DWORD dst_unused:UNUSED_PAD src0_sel:BYTE_0
	v_pack_b32_f16 v43, v43, v44
	v_mul_u32_u24_e32 v44, 0x10001, v229
	v_pk_mul_f16 v128, v42, v44
	v_pk_mul_f16 v129, v43, v44
	v_pk_fma_f16 v42, v126, v45, v46
	v_pk_fma_f16 v43, v127, v45, v47
	;; [unrolled: 1-line block ×8, first 2 shown]
	v_add_co_u32 v34, vcc_lo, s5, v189
	v_add_co_ci_u32_e64 v50, null, s11, v210, vcc_lo
	v_add_co_u32 v38, vcc_lo, v34, v223
	v_add_co_ci_u32_e64 v39, null, v50, v222, vcc_lo
	;; [unrolled: 2-line block ×3, first 2 shown]
	global_load_dword v228, v[40:41], off offset:2
	v_add_co_u32 v40, vcc_lo, v34, v225
	v_add_co_ci_u32_e64 v41, null, v50, v224, vcc_lo
	v_add_co_u32 v34, vcc_lo, s5, v194
	v_add_co_ci_u32_e64 v50, null, s11, v211, vcc_lo
	;; [unrolled: 2-line block ×5, first 2 shown]
	s_clause 0x4
	global_load_ushort v34, v[128:129], off
	global_load_ushort v50, v[126:127], off
	;; [unrolled: 1-line block ×4, first 2 shown]
	global_load_dword v39, v[226:227], off offset:2
	ds_write_b128 v135, v[42:45]
	ds_write_b128 v135, v[46:49] offset:16
	s_waitcnt vmcnt(5)
	v_pk_lshrrev_b16 v41, 8, v228 op_sel:[1,0] op_sel_hi:[0,0]
	v_lshrrev_b32_e32 v226, 16, v41
	v_cvt_f16_i16_sdwa v41, sext(v41) dst_sel:DWORD dst_unused:UNUSED_PAD src0_sel:BYTE_0
	v_cvt_f16_i16_sdwa v226, sext(v226) dst_sel:DWORD dst_unused:UNUSED_PAD src0_sel:BYTE_0
	v_pack_b32_f16 v41, v41, v226
	v_pk_lshrrev_b16 v226, 8, v228 op_sel:[1,1] op_sel_hi:[0,1]
	s_waitcnt vmcnt(4)
	v_mul_u32_u24_e32 v34, 0x10001, v34
	s_waitcnt vmcnt(2)
	v_mul_u32_u24_e32 v40, 0x10001, v40
	v_lshrrev_b32_e32 v227, 16, v226
	v_cvt_f16_i16_sdwa v226, sext(v226) dst_sel:DWORD dst_unused:UNUSED_PAD src0_sel:BYTE_0
	s_waitcnt vmcnt(1)
	v_mul_u32_u24_e32 v38, 0x10001, v38
	v_cvt_f16_i16_sdwa v227, sext(v227) dst_sel:DWORD dst_unused:UNUSED_PAD src0_sel:BYTE_0
	v_pack_b32_f16 v226, v226, v227
	v_pk_mul_f16 v227, v41, v38
	v_pk_mul_f16 v226, v226, v38
	s_waitcnt vmcnt(0)
	v_pk_lshrrev_b16 v38, 8, v39 op_sel:[1,0] op_sel_hi:[0,0]
	v_pk_lshrrev_b16 v39, 8, v39 op_sel:[1,1] op_sel_hi:[0,1]
	v_lshrrev_b32_e32 v41, 16, v38
	v_cvt_f16_i16_sdwa v38, sext(v38) dst_sel:DWORD dst_unused:UNUSED_PAD src0_sel:BYTE_0
	v_cvt_f16_i16_sdwa v41, sext(v41) dst_sel:DWORD dst_unused:UNUSED_PAD src0_sel:BYTE_0
	v_pack_b32_f16 v38, v38, v41
	v_lshrrev_b32_e32 v41, 16, v39
	v_cvt_f16_i16_sdwa v39, sext(v39) dst_sel:DWORD dst_unused:UNUSED_PAD src0_sel:BYTE_0
	v_pk_mul_f16 v228, v38, v40
	v_cvt_f16_i16_sdwa v41, sext(v41) dst_sel:DWORD dst_unused:UNUSED_PAD src0_sel:BYTE_0
	v_pack_b32_f16 v39, v39, v41
	v_mul_u32_u24_sdwa v41, v51, v217 dst_sel:DWORD dst_unused:UNUSED_PAD src0_sel:WORD_0 src1_sel:DWORD
	v_pk_mul_f16 v229, v39, v40
	v_pk_fma_f16 v38, v227, v41, v42
	v_pk_fma_f16 v39, v226, v41, v43
	;; [unrolled: 1-line block ×4, first 2 shown]
	v_mul_u32_u24_sdwa v45, v35, v217 dst_sel:DWORD dst_unused:UNUSED_PAD src0_sel:WORD_0 src1_sel:DWORD
	v_mul_u32_u24_sdwa v35, v35, v217 dst_sel:DWORD dst_unused:UNUSED_PAD src0_sel:WORD_1 src1_sel:DWORD
	v_pk_fma_f16 v42, v227, v45, v46
	v_add_co_u32 v46, vcc_lo, v126, v175
	v_pk_fma_f16 v43, v226, v45, v47
	v_pk_fma_f16 v44, v228, v45, v48
	v_add_co_ci_u32_e64 v47, null, 0, v127, vcc_lo
	v_add_co_u32 v48, vcc_lo, v128, v177
	v_pk_fma_f16 v45, v229, v45, v49
	v_add_co_ci_u32_e64 v49, null, 0, v129, vcc_lo
	s_clause 0x1
	global_load_dword v46, v[46:47], off offset:2
	global_load_dword v47, v[48:49], off offset:2
	ds_write_b128 v135, v[38:41]
	ds_write_b128 v135, v[42:45] offset:16
	s_waitcnt vmcnt(1)
	v_pk_lshrrev_b16 v48, 8, v46 op_sel:[1,0] op_sel_hi:[0,0]
	v_pk_lshrrev_b16 v46, 8, v46 op_sel:[1,1] op_sel_hi:[0,1]
	v_lshrrev_b32_e32 v49, 16, v48
	v_cvt_f16_i16_sdwa v48, sext(v48) dst_sel:DWORD dst_unused:UNUSED_PAD src0_sel:BYTE_0
	v_cvt_f16_i16_sdwa v49, sext(v49) dst_sel:DWORD dst_unused:UNUSED_PAD src0_sel:BYTE_0
	v_pack_b32_f16 v48, v48, v49
	v_lshrrev_b32_e32 v49, 16, v46
	v_cvt_f16_i16_sdwa v46, sext(v46) dst_sel:DWORD dst_unused:UNUSED_PAD src0_sel:BYTE_0
	v_cvt_f16_i16_sdwa v49, sext(v49) dst_sel:DWORD dst_unused:UNUSED_PAD src0_sel:BYTE_0
	v_pack_b32_f16 v46, v46, v49
	v_mul_u32_u24_e32 v49, 0x10001, v50
	v_pk_mul_f16 v126, v46, v49
	s_waitcnt vmcnt(0)
	v_pk_lshrrev_b16 v46, 8, v47 op_sel:[1,0] op_sel_hi:[0,0]
	v_pk_mul_f16 v50, v48, v49
	v_pk_lshrrev_b16 v47, 8, v47 op_sel:[1,1] op_sel_hi:[0,1]
	v_mul_u32_u24_sdwa v49, v51, v217 dst_sel:DWORD dst_unused:UNUSED_PAD src0_sel:WORD_1 src1_sel:DWORD
	v_lshrrev_b32_e32 v48, 16, v46
	v_cvt_f16_i16_sdwa v46, sext(v46) dst_sel:DWORD dst_unused:UNUSED_PAD src0_sel:BYTE_0
	v_cvt_f16_i16_sdwa v48, sext(v48) dst_sel:DWORD dst_unused:UNUSED_PAD src0_sel:BYTE_0
	v_pack_b32_f16 v46, v46, v48
	v_lshrrev_b32_e32 v48, 16, v47
	v_cvt_f16_i16_sdwa v47, sext(v47) dst_sel:DWORD dst_unused:UNUSED_PAD src0_sel:BYTE_0
	v_pk_mul_f16 v127, v46, v34
	v_cvt_f16_i16_sdwa v48, sext(v48) dst_sel:DWORD dst_unused:UNUSED_PAD src0_sel:BYTE_0
	v_pk_fma_f16 v46, v50, v49, v38
	v_pk_fma_f16 v38, v50, v35, v42
	v_pack_b32_f16 v47, v47, v48
	v_pk_fma_f16 v48, v127, v49, v40
	v_pk_fma_f16 v40, v127, v35, v44
	v_add_co_u32 v44, vcc_lo, s5, v199
	v_pk_mul_f16 v34, v47, v34
	v_pk_fma_f16 v47, v126, v49, v39
	v_pk_fma_f16 v39, v126, v35, v43
	;; [unrolled: 1-line block ×4, first 2 shown]
	v_add_co_ci_u32_e64 v45, null, s11, v212, vcc_lo
	v_add_co_u32 v34, vcc_lo, v44, v223
	v_add_co_ci_u32_e64 v35, null, v45, v222, vcc_lo
	v_add_co_u32 v42, vcc_lo, v34, v175
	v_add_co_ci_u32_e64 v43, null, 0, v35, vcc_lo
	global_load_dword v128, v[42:43], off offset:2
	v_add_co_u32 v42, vcc_lo, v44, v225
	v_add_co_ci_u32_e64 v43, null, v45, v224, vcc_lo
	v_add_co_u32 v44, vcc_lo, s5, v204
	v_add_co_ci_u32_e64 v45, null, s11, v213, vcc_lo
	;; [unrolled: 2-line block ×5, first 2 shown]
	s_clause 0x4
	global_load_ushort v129, v[126:127], off
	global_load_ushort v226, v[50:51], off
	;; [unrolled: 1-line block ×4, first 2 shown]
	global_load_dword v35, v[44:45], off offset:2
	ds_write_b128 v135, v[46:49]
	ds_write_b128 v135, v[38:41] offset:16
	s_waitcnt vmcnt(5)
	v_pk_lshrrev_b16 v43, 8, v128 op_sel:[1,0] op_sel_hi:[0,0]
	v_lshrrev_b32_e32 v44, 16, v43
	v_cvt_f16_i16_sdwa v43, sext(v43) dst_sel:DWORD dst_unused:UNUSED_PAD src0_sel:BYTE_0
	v_cvt_f16_i16_sdwa v44, sext(v44) dst_sel:DWORD dst_unused:UNUSED_PAD src0_sel:BYTE_0
	v_pack_b32_f16 v43, v43, v44
	v_pk_lshrrev_b16 v44, 8, v128 op_sel:[1,1] op_sel_hi:[0,1]
	s_waitcnt vmcnt(2)
	v_mul_u32_u24_e32 v42, 0x10001, v42
	v_lshrrev_b32_e32 v45, 16, v44
	v_cvt_f16_i16_sdwa v44, sext(v44) dst_sel:DWORD dst_unused:UNUSED_PAD src0_sel:BYTE_0
	s_waitcnt vmcnt(1)
	v_mul_u32_u24_e32 v34, 0x10001, v34
	v_cvt_f16_i16_sdwa v45, sext(v45) dst_sel:DWORD dst_unused:UNUSED_PAD src0_sel:BYTE_0
	v_pk_mul_f16 v128, v43, v34
	s_waitcnt vmcnt(0)
	v_pk_lshrrev_b16 v43, 8, v35 op_sel:[1,0] op_sel_hi:[0,0]
	v_pk_lshrrev_b16 v35, 8, v35 op_sel:[1,1] op_sel_hi:[0,1]
	v_pack_b32_f16 v44, v44, v45
	v_mul_u32_u24_sdwa v45, v52, v217 dst_sel:DWORD dst_unused:UNUSED_PAD src0_sel:WORD_0 src1_sel:DWORD
	v_pk_mul_f16 v34, v44, v34
	v_lshrrev_b32_e32 v44, 16, v43
	v_cvt_f16_i16_sdwa v43, sext(v43) dst_sel:DWORD dst_unused:UNUSED_PAD src0_sel:BYTE_0
	v_cvt_f16_i16_sdwa v44, sext(v44) dst_sel:DWORD dst_unused:UNUSED_PAD src0_sel:BYTE_0
	v_pack_b32_f16 v43, v43, v44
	v_lshrrev_b32_e32 v44, 16, v35
	v_cvt_f16_i16_sdwa v35, sext(v35) dst_sel:DWORD dst_unused:UNUSED_PAD src0_sel:BYTE_0
	v_pk_mul_f16 v227, v43, v42
	v_cvt_f16_i16_sdwa v44, sext(v44) dst_sel:DWORD dst_unused:UNUSED_PAD src0_sel:BYTE_0
	v_pk_fma_f16 v43, v34, v45, v47
	v_pack_b32_f16 v35, v35, v44
	v_pk_fma_f16 v44, v227, v45, v48
	v_pk_mul_f16 v35, v35, v42
	v_pk_fma_f16 v42, v128, v45, v46
	v_pk_fma_f16 v45, v35, v45, v49
	v_mul_u32_u24_sdwa v49, v36, v217 dst_sel:DWORD dst_unused:UNUSED_PAD src0_sel:WORD_0 src1_sel:DWORD
	v_mul_u32_u24_sdwa v36, v36, v217 dst_sel:DWORD dst_unused:UNUSED_PAD src0_sel:WORD_1 src1_sel:DWORD
	v_pk_fma_f16 v47, v34, v49, v39
	v_add_co_u32 v34, vcc_lo, v50, v175
	v_pk_fma_f16 v46, v128, v49, v38
	v_pk_fma_f16 v48, v227, v49, v40
	;; [unrolled: 1-line block ×3, first 2 shown]
	v_add_co_ci_u32_e64 v35, null, 0, v51, vcc_lo
	v_add_co_u32 v38, vcc_lo, v126, v177
	v_add_co_ci_u32_e64 v39, null, 0, v127, vcc_lo
	s_clause 0x1
	global_load_dword v34, v[34:35], off offset:2
	global_load_dword v35, v[38:39], off offset:2
	v_mul_u32_u24_sdwa v41, v52, v217 dst_sel:DWORD dst_unused:UNUSED_PAD src0_sel:WORD_1 src1_sel:DWORD
	ds_write_b128 v135, v[42:45]
	ds_write_b128 v135, v[46:49] offset:16
	s_waitcnt vmcnt(1)
	v_pk_lshrrev_b16 v38, 8, v34 op_sel:[1,0] op_sel_hi:[0,0]
	v_pk_lshrrev_b16 v34, 8, v34 op_sel:[1,1] op_sel_hi:[0,1]
	v_lshrrev_b32_e32 v39, 16, v38
	v_cvt_f16_i16_sdwa v38, sext(v38) dst_sel:DWORD dst_unused:UNUSED_PAD src0_sel:BYTE_0
	v_cvt_f16_i16_sdwa v39, sext(v39) dst_sel:DWORD dst_unused:UNUSED_PAD src0_sel:BYTE_0
	v_pack_b32_f16 v38, v38, v39
	v_lshrrev_b32_e32 v39, 16, v34
	v_cvt_f16_i16_sdwa v34, sext(v34) dst_sel:DWORD dst_unused:UNUSED_PAD src0_sel:BYTE_0
	v_cvt_f16_i16_sdwa v39, sext(v39) dst_sel:DWORD dst_unused:UNUSED_PAD src0_sel:BYTE_0
	v_pack_b32_f16 v34, v34, v39
	v_mul_u32_u24_e32 v39, 0x10001, v226
	v_pk_mul_f16 v50, v38, v39
	s_waitcnt vmcnt(0)
	v_pk_lshrrev_b16 v38, 8, v35 op_sel:[1,0] op_sel_hi:[0,0]
	v_pk_mul_f16 v34, v34, v39
	v_pk_lshrrev_b16 v35, 8, v35 op_sel:[1,1] op_sel_hi:[0,1]
	v_lshrrev_b32_e32 v39, 16, v38
	v_cvt_f16_i16_sdwa v38, sext(v38) dst_sel:DWORD dst_unused:UNUSED_PAD src0_sel:BYTE_0
	v_cvt_f16_i16_sdwa v39, sext(v39) dst_sel:DWORD dst_unused:UNUSED_PAD src0_sel:BYTE_0
	v_pack_b32_f16 v38, v38, v39
	v_lshrrev_b32_e32 v39, 16, v35
	v_cvt_f16_i16_sdwa v35, sext(v35) dst_sel:DWORD dst_unused:UNUSED_PAD src0_sel:BYTE_0
	v_cvt_f16_i16_sdwa v39, sext(v39) dst_sel:DWORD dst_unused:UNUSED_PAD src0_sel:BYTE_0
	v_pack_b32_f16 v35, v35, v39
	v_mul_u32_u24_e32 v39, 0x10001, v129
	v_pk_mul_f16 v51, v38, v39
	v_pk_mul_f16 v35, v35, v39
	v_pk_fma_f16 v38, v50, v41, v42
	v_pk_fma_f16 v39, v34, v41, v43
	;; [unrolled: 1-line block ×8, first 2 shown]
	v_add_co_u32 v36, vcc_lo, s5, v209
	v_add_co_ci_u32_e64 v47, null, s11, v214, vcc_lo
	v_add_co_u32 v34, vcc_lo, v36, v223
	v_add_co_ci_u32_e64 v35, null, v47, v222, vcc_lo
	;; [unrolled: 2-line block ×4, first 2 shown]
	s_add_u32 s5, s5, s18
	v_add_co_u32 v50, vcc_lo, v36, v223
	v_add_co_ci_u32_e64 v51, null, v48, v222, vcc_lo
	v_add_co_u32 v126, vcc_lo, v36, v225
	v_add_co_ci_u32_e64 v127, null, v48, v224, vcc_lo
	;; [unrolled: 2-line block ×3, first 2 shown]
	s_addc_u32 s11, s11, 0
	s_add_u32 s8, s8, s2
	s_addc_u32 s9, s9, s3
	global_load_dword v36, v[48:49], off offset:2
	v_add_co_u32 v48, vcc_lo, v46, v177
	v_add_co_ci_u32_e64 v49, null, 0, v47, vcc_lo
	s_clause 0x4
	global_load_ushort v52, v[126:127], off
	global_load_ushort v128, v[50:51], off
	global_load_ushort v46, v[46:47], off
	global_load_ushort v34, v[34:35], off
	global_load_dword v35, v[48:49], off offset:2
	v_mul_u32_u24_sdwa v49, v53, v217 dst_sel:DWORD dst_unused:UNUSED_PAD src0_sel:WORD_0 src1_sel:DWORD
	ds_write_b128 v135, v[38:41]
	ds_write_b128 v135, v[42:45] offset:16
	s_cmp_ge_i32 s12, s39
	s_waitcnt vmcnt(5)
	v_pk_lshrrev_b16 v47, 8, v36 op_sel:[1,0] op_sel_hi:[0,0]
	v_pk_lshrrev_b16 v36, 8, v36 op_sel:[1,1] op_sel_hi:[0,1]
	s_waitcnt vmcnt(2)
	v_mul_u32_u24_e32 v46, 0x10001, v46
	s_waitcnt vmcnt(1)
	v_mul_u32_u24_e32 v34, 0x10001, v34
	v_lshrrev_b32_e32 v48, 16, v47
	v_cvt_f16_i16_sdwa v47, sext(v47) dst_sel:DWORD dst_unused:UNUSED_PAD src0_sel:BYTE_0
	v_cvt_f16_i16_sdwa v48, sext(v48) dst_sel:DWORD dst_unused:UNUSED_PAD src0_sel:BYTE_0
	v_pack_b32_f16 v47, v47, v48
	v_lshrrev_b32_e32 v48, 16, v36
	v_cvt_f16_i16_sdwa v36, sext(v36) dst_sel:DWORD dst_unused:UNUSED_PAD src0_sel:BYTE_0
	v_pk_mul_f16 v129, v47, v34
	v_cvt_f16_i16_sdwa v48, sext(v48) dst_sel:DWORD dst_unused:UNUSED_PAD src0_sel:BYTE_0
	v_pack_b32_f16 v36, v36, v48
	v_pk_mul_f16 v34, v36, v34
	s_waitcnt vmcnt(0)
	v_pk_lshrrev_b16 v36, 8, v35 op_sel:[1,0] op_sel_hi:[0,0]
	v_pk_lshrrev_b16 v35, 8, v35 op_sel:[1,1] op_sel_hi:[0,1]
	v_lshrrev_b32_e32 v47, 16, v36
	v_cvt_f16_i16_sdwa v36, sext(v36) dst_sel:DWORD dst_unused:UNUSED_PAD src0_sel:BYTE_0
	v_cvt_f16_i16_sdwa v47, sext(v47) dst_sel:DWORD dst_unused:UNUSED_PAD src0_sel:BYTE_0
	v_pack_b32_f16 v36, v36, v47
	v_lshrrev_b32_e32 v47, 16, v35
	v_cvt_f16_i16_sdwa v35, sext(v35) dst_sel:DWORD dst_unused:UNUSED_PAD src0_sel:BYTE_0
	v_pk_mul_f16 v36, v36, v46
	v_cvt_f16_i16_sdwa v47, sext(v47) dst_sel:DWORD dst_unused:UNUSED_PAD src0_sel:BYTE_0
	v_pk_fma_f16 v48, v36, v49, v40
	v_pack_b32_f16 v35, v35, v47
	v_pk_fma_f16 v47, v34, v49, v39
	v_pk_mul_f16 v35, v35, v46
	v_pk_fma_f16 v46, v129, v49, v38
	v_pk_fma_f16 v49, v35, v49, v41
	v_mul_u32_u24_sdwa v41, v37, v217 dst_sel:DWORD dst_unused:UNUSED_PAD src0_sel:WORD_0 src1_sel:DWORD
	v_mul_u32_u24_sdwa v37, v37, v217 dst_sel:DWORD dst_unused:UNUSED_PAD src0_sel:WORD_1 src1_sel:DWORD
	v_pk_fma_f16 v39, v34, v41, v43
	v_add_co_u32 v34, vcc_lo, v50, v175
	v_pk_fma_f16 v38, v129, v41, v42
	v_pk_fma_f16 v40, v36, v41, v44
	;; [unrolled: 1-line block ×3, first 2 shown]
	v_add_co_ci_u32_e64 v35, null, 0, v51, vcc_lo
	v_add_co_u32 v42, vcc_lo, v126, v177
	v_add_co_ci_u32_e64 v43, null, 0, v127, vcc_lo
	s_clause 0x1
	global_load_dword v34, v[34:35], off offset:2
	global_load_dword v35, v[42:43], off offset:2
	v_mul_u32_u24_sdwa v36, v53, v217 dst_sel:DWORD dst_unused:UNUSED_PAD src0_sel:WORD_1 src1_sel:DWORD
	ds_write_b128 v135, v[46:49]
	s_waitcnt vmcnt(1)
	v_pk_lshrrev_b16 v42, 8, v34 op_sel:[1,0] op_sel_hi:[0,0]
	v_pk_lshrrev_b16 v34, 8, v34 op_sel:[1,1] op_sel_hi:[0,1]
	v_lshrrev_b32_e32 v43, 16, v42
	v_cvt_f16_i16_sdwa v42, sext(v42) dst_sel:DWORD dst_unused:UNUSED_PAD src0_sel:BYTE_0
	v_cvt_f16_i16_sdwa v43, sext(v43) dst_sel:DWORD dst_unused:UNUSED_PAD src0_sel:BYTE_0
	v_pack_b32_f16 v42, v42, v43
	v_lshrrev_b32_e32 v43, 16, v34
	v_cvt_f16_i16_sdwa v34, sext(v34) dst_sel:DWORD dst_unused:UNUSED_PAD src0_sel:BYTE_0
	v_cvt_f16_i16_sdwa v43, sext(v43) dst_sel:DWORD dst_unused:UNUSED_PAD src0_sel:BYTE_0
	v_pack_b32_f16 v34, v34, v43
	v_mul_u32_u24_e32 v43, 0x10001, v128
	v_pk_mul_f16 v51, v34, v43
	s_waitcnt vmcnt(0)
	v_pk_lshrrev_b16 v34, 8, v35 op_sel:[1,0] op_sel_hi:[0,0]
	v_pk_mul_f16 v50, v42, v43
	v_pk_lshrrev_b16 v35, 8, v35 op_sel:[1,1] op_sel_hi:[0,1]
	v_pk_fma_f16 v43, v51, v36, v47
	v_lshrrev_b32_e32 v42, 16, v34
	v_cvt_f16_i16_sdwa v34, sext(v34) dst_sel:DWORD dst_unused:UNUSED_PAD src0_sel:BYTE_0
	v_cvt_f16_i16_sdwa v42, sext(v42) dst_sel:DWORD dst_unused:UNUSED_PAD src0_sel:BYTE_0
	v_pack_b32_f16 v34, v34, v42
	v_lshrrev_b32_e32 v42, 16, v35
	v_cvt_f16_i16_sdwa v35, sext(v35) dst_sel:DWORD dst_unused:UNUSED_PAD src0_sel:BYTE_0
	v_cvt_f16_i16_sdwa v42, sext(v42) dst_sel:DWORD dst_unused:UNUSED_PAD src0_sel:BYTE_0
	v_pack_b32_f16 v35, v35, v42
	v_mul_u32_u24_e32 v42, 0x10001, v52
	v_pk_mul_f16 v52, v34, v42
	v_pk_mul_f16 v53, v35, v42
	v_pk_fma_f16 v42, v50, v36, v46
	v_pk_fma_f16 v34, v50, v37, v38
	;; [unrolled: 1-line block ×7, first 2 shown]
	ds_write_b128 v135, v[38:41] offset:16
	ds_write_b128 v135, v[42:45]
	ds_write_b128 v135, v[34:37] offset:16
	v_mov_b32_e32 v37, v124
	v_mov_b32_e32 v38, v125
	s_cbranch_scc1 .LBB28_30
.LBB28_22:                              ; =>This Inner Loop Header: Depth=1
	v_add_co_u32 v34, vcc_lo, s13, v153
	v_add_co_ci_u32_e64 v35, null, s16, v157, vcc_lo
	v_mov_b32_e32 v48, 0
	v_add_co_u32 v46, vcc_lo, v34, v137
	v_add_co_ci_u32_e64 v47, null, 0, v35, vcc_lo
	s_clause 0x17
	global_load_ushort v40, v[34:35], off
	global_load_ushort v41, v[34:35], off offset:18
	global_load_ushort v42, v[34:35], off offset:36
	;; [unrolled: 1-line block ×7, first 2 shown]
	global_load_dword v39, v[46:47], off offset:2
	global_load_dword v49, v[46:47], off offset:10
	;; [unrolled: 1-line block ×16, first 2 shown]
	v_mov_b32_e32 v124, 0
	v_mov_b32_e32 v125, 0
	;; [unrolled: 1-line block ×14, first 2 shown]
	s_andn2_b32 vcc_lo, exec_lo, s19
	s_waitcnt vmcnt(15)
	v_and_b32_e32 v46, 0xf0f0f0f, v39
	s_waitcnt vmcnt(14)
	v_and_b32_e32 v47, 0xf0f0f0f, v49
	v_lshrrev_b32_e32 v39, 4, v39
	v_lshrrev_b32_e32 v49, 4, v49
	v_dot4c_i32_i8 v48, v46, v56
	v_dot4c_i32_i8 v124, v47, v57
	v_and_b32_e32 v49, 0xf0f0f0f, v49
	v_cvt_f32_i32_e32 v48, v48
	v_cvt_f32_i32_e32 v124, v124
	s_waitcnt vmcnt(3)
	v_and_b32_e32 v230, 0xf0f0f0f, v228
	v_lshrrev_b32_e32 v228, 4, v228
	v_fma_f32 v48, v2, v48, -v3
	v_fma_f32 v124, v2, v124, -v3
	v_and_b32_e32 v228, 0xf0f0f0f, v228
	v_fma_mix_f32 v48, v48, v40, 0 op_sel_hi:[0,1,0]
	v_fma_mix_f32 v124, v124, v40, v48 op_sel_hi:[0,1,0]
	v_and_b32_e32 v48, 0xf0f0f0f, v39
	v_mov_b32_e32 v39, 0
	v_dot4c_i32_i8 v39, v48, v58
	v_cvt_f32_i32_e32 v39, v39
	v_fma_f32 v39, v2, v39, -v3
	v_fma_mix_f32 v39, v39, v40, v124 op_sel_hi:[0,1,0]
	v_mov_b32_e32 v124, 0
	v_dot4c_i32_i8 v124, v49, v59
	v_cvt_f32_i32_e32 v124, v124
	v_fma_f32 v124, v2, v124, -v3
	v_fma_mix_f32 v39, v124, v40, v39 op_sel_hi:[0,1,0]
	v_and_b32_e32 v124, 0xf0f0f0f, v50
	v_lshrrev_b32_e32 v50, 4, v50
	v_dot4c_i32_i8 v125, v124, v60
	v_and_b32_e32 v50, 0xf0f0f0f, v50
	v_cvt_f32_i32_e32 v125, v125
	v_fma_f32 v125, v4, v125, -v5
	v_fma_mix_f32 v39, v125, v41, v39 op_sel_hi:[0,1,0]
	v_and_b32_e32 v125, 0xf0f0f0f, v51
	v_lshrrev_b32_e32 v51, 4, v51
	v_dot4c_i32_i8 v128, v125, v61
	v_and_b32_e32 v51, 0xf0f0f0f, v51
	v_cvt_f32_i32_e32 v128, v128
	v_fma_f32 v128, v4, v128, -v5
	v_fma_mix_f32 v39, v128, v41, v39 op_sel_hi:[0,1,0]
	v_mov_b32_e32 v128, 0
	v_dot4c_i32_i8 v128, v50, v62
	v_cvt_f32_i32_e32 v128, v128
	v_fma_f32 v128, v4, v128, -v5
	v_fma_mix_f32 v39, v128, v41, v39 op_sel_hi:[0,1,0]
	v_mov_b32_e32 v128, 0
	v_dot4c_i32_i8 v128, v51, v63
	v_cvt_f32_i32_e32 v128, v128
	v_fma_f32 v128, v4, v128, -v5
	v_fma_mix_f32 v39, v128, v41, v39 op_sel_hi:[0,1,0]
	v_and_b32_e32 v128, 0xf0f0f0f, v52
	v_lshrrev_b32_e32 v52, 4, v52
	v_dot4c_i32_i8 v129, v128, v64
	v_and_b32_e32 v52, 0xf0f0f0f, v52
	v_cvt_f32_i32_e32 v129, v129
	v_fma_f32 v129, v6, v129, -v7
	v_fma_mix_f32 v39, v129, v42, v39 op_sel_hi:[0,1,0]
	v_and_b32_e32 v129, 0xf0f0f0f, v53
	v_lshrrev_b32_e32 v53, 4, v53
	v_dot4c_i32_i8 v220, v129, v65
	v_and_b32_e32 v53, 0xf0f0f0f, v53
	v_cvt_f32_i32_e32 v220, v220
	v_fma_f32 v220, v6, v220, -v7
	v_fma_mix_f32 v39, v220, v42, v39 op_sel_hi:[0,1,0]
	;; [unrolled: 24-line block ×5, first 2 shown]
	v_mov_b32_e32 v229, 0
	v_dot4c_i32_i8 v229, v226, v78
	v_cvt_f32_i32_e32 v229, v229
	v_fma_f32 v229, v12, v229, -v13
	v_fma_mix_f32 v39, v229, v45, v39 op_sel_hi:[0,1,0]
	v_mov_b32_e32 v229, 0
	v_dot4c_i32_i8 v229, v227, v79
	v_cvt_f32_i32_e32 v229, v229
	v_fma_f32 v229, v12, v229, -v13
	v_fma_mix_f32 v39, v229, v45, v39 op_sel_hi:[0,1,0]
	;; [unrolled: 5-line block ×3, first 2 shown]
	s_waitcnt vmcnt(2)
	v_and_b32_e32 v229, 0xf0f0f0f, v231
	v_lshrrev_b32_e32 v231, 4, v231
	v_dot4c_i32_i8 v232, v229, v81
	v_cvt_f32_i32_e32 v232, v232
	v_fma_f32 v232, v14, v232, -v15
	v_fma_mix_f32 v39, v232, v36, v39 op_sel_hi:[0,1,0]
	v_mov_b32_e32 v232, 0
	v_dot4c_i32_i8 v232, v228, v82
	v_cvt_f32_i32_e32 v232, v232
	v_fma_f32 v232, v14, v232, -v15
	v_fma_mix_f32 v39, v232, v36, v39 op_sel_hi:[0,1,0]
	v_and_b32_e32 v232, 0xf0f0f0f, v231
	v_mov_b32_e32 v231, 0
	v_dot4c_i32_i8 v231, v232, v83
	v_cvt_f32_i32_e32 v231, v231
	v_fma_f32 v231, v14, v231, -v15
	v_fma_mix_f32 v39, v231, v36, v39 op_sel_hi:[0,1,0]
	s_waitcnt vmcnt(1)
	v_and_b32_e32 v231, 0xf0f0f0f, v234
	v_lshrrev_b32_e32 v234, 4, v234
	v_dot4c_i32_i8 v233, v231, v84
	v_and_b32_e32 v234, 0xf0f0f0f, v234
	v_cvt_f32_i32_e32 v233, v233
	v_fma_f32 v233, v16, v233, -v17
	v_fma_mix_f32 v39, v233, v35, v39 op_sel_hi:[0,1,0]
	s_waitcnt vmcnt(0)
	v_and_b32_e32 v233, 0xf0f0f0f, v34
	v_lshrrev_b32_e32 v34, 4, v34
	v_dot4c_i32_i8 v235, v233, v85
	v_cvt_f32_i32_e32 v235, v235
	v_fma_f32 v235, v16, v235, -v17
	v_fma_mix_f32 v39, v235, v35, v39 op_sel_hi:[0,1,0]
	v_mov_b32_e32 v235, 0
	v_dot4c_i32_i8 v235, v234, v86
	v_cvt_f32_i32_e32 v235, v235
	v_fma_f32 v235, v16, v235, -v17
	v_fma_mix_f32 v39, v235, v35, v39 op_sel_hi:[0,1,0]
	v_and_b32_e32 v235, 0xf0f0f0f, v34
	v_mov_b32_e32 v34, 0
	v_dot4c_i32_i8 v34, v235, v87
	v_cvt_f32_i32_e32 v34, v34
	v_fma_f32 v34, v16, v34, -v17
	v_fma_mix_f32 v34, v34, v35, v39 op_sel_hi:[0,1,0]
	ds_bpermute_b32 v39, v155, v34
	s_waitcnt lgkmcnt(0)
	v_add_f32_e32 v39, v34, v39
	v_lshlrev_b32_e32 v34, 1, v151
	s_cbranch_vccnz .LBB28_24
; %bb.23:                               ;   in Loop: Header=BB28_22 Depth=1
	global_load_ushort v236, v34, s[8:9]
	s_waitcnt vmcnt(0)
	v_fma_mix_f32 v39, v133, v236, v39 op_sel_hi:[0,1,0]
.LBB28_24:                              ;   in Loop: Header=BB28_22 Depth=1
	v_mov_b32_e32 v236, 0
	v_mov_b32_e32 v237, 0
	v_cvt_f32_f16_e32 v40, v40
	v_cvt_f32_f16_e32 v41, v41
	;; [unrolled: 1-line block ×3, first 2 shown]
	v_dot4c_i32_i8 v236, v46, v88
	v_mov_b32_e32 v46, 0
	v_dot4c_i32_i8 v237, v47, v89
	v_cvt_f32_f16_e32 v43, v43
	v_cvt_f32_f16_e32 v44, v44
	v_cvt_f32_i32_e32 v47, v236
	v_mov_b32_e32 v236, 0
	v_dot4c_i32_i8 v46, v48, v90
	v_cvt_f32_i32_e32 v48, v237
	v_mov_b32_e32 v237, 0
	v_fma_f32 v47, v18, v47, -v19
	v_dot4c_i32_i8 v236, v49, v91
	v_cvt_f32_i32_e32 v46, v46
	v_fma_f32 v48, v18, v48, -v19
	v_mov_b32_e32 v49, 0
	v_fma_f32 v47, v47, v40, 0
	v_dot4c_i32_i8 v237, v124, v92
	v_cvt_f32_i32_e32 v124, v236
	v_fma_f32 v46, v18, v46, -v19
	v_dot4c_i32_i8 v49, v125, v93
	v_fmac_f32_e32 v47, v48, v40
	v_mov_b32_e32 v48, 0
	v_cvt_f32_i32_e32 v125, v237
	v_fma_f32 v124, v18, v124, -v19
	v_cvt_f32_i32_e32 v49, v49
	v_fmac_f32_e32 v47, v46, v40
	v_mov_b32_e32 v46, 0
	v_dot4c_i32_i8 v48, v50, v94
	v_fma_f32 v50, v20, v125, -v21
	v_fma_f32 v49, v20, v49, -v21
	v_fmac_f32_e32 v47, v124, v40
	v_mov_b32_e32 v40, 0
	v_dot4c_i32_i8 v46, v51, v95
	v_cvt_f32_i32_e32 v48, v48
	v_cvt_f32_f16_e32 v45, v45
	v_fmac_f32_e32 v47, v50, v41
	v_mov_b32_e32 v50, 0
	v_dot4c_i32_i8 v40, v128, v96
	v_cvt_f32_i32_e32 v46, v46
	v_fma_f32 v48, v20, v48, -v21
	v_fmac_f32_e32 v47, v49, v41
	v_mov_b32_e32 v49, 0
	v_dot4c_i32_i8 v50, v129, v97
	v_cvt_f32_i32_e32 v40, v40
	v_fma_f32 v46, v20, v46, -v21
	;; [unrolled: 5-line block ×14, first 2 shown]
	v_fmac_f32_e32 v47, v40, v44
	v_dot4c_i32_i8 v41, v226, v110
	v_cvt_f32_i32_e32 v40, v42
	v_fma_f32 v42, v28, v43, -v29
	v_mov_b32_e32 v43, 0
	v_fmac_f32_e32 v47, v46, v44
	v_mov_b32_e32 v44, 0
	v_cvt_f32_i32_e32 v41, v41
	v_fma_f32 v40, v28, v40, -v29
	v_dot4c_i32_i8 v43, v227, v111
	v_fmac_f32_e32 v47, v42, v45
	v_dot4c_i32_i8 v44, v230, v112
	v_mov_b32_e32 v42, 0
	v_fma_f32 v41, v28, v41, -v29
	v_cvt_f32_f16_e32 v36, v36
	v_fmac_f32_e32 v47, v40, v45
	v_cvt_f32_i32_e32 v40, v43
	v_cvt_f32_i32_e32 v43, v44
	v_mov_b32_e32 v44, 0
	v_dot4c_i32_i8 v42, v229, v113
	v_fmac_f32_e32 v47, v41, v45
	v_fma_f32 v40, v28, v40, -v29
	v_fma_f32 v41, v30, v43, -v31
	v_mov_b32_e32 v43, 0
	v_dot4c_i32_i8 v44, v228, v114
	v_cvt_f32_i32_e32 v42, v42
	v_fmac_f32_e32 v47, v40, v45
	v_cvt_f32_f16_e32 v35, v35
	v_dot4c_i32_i8 v43, v232, v115
	v_cvt_f32_i32_e32 v40, v44
	v_fma_f32 v42, v30, v42, -v31
	v_fmac_f32_e32 v47, v41, v36
	v_mov_b32_e32 v41, 0
	v_mov_b32_e32 v44, 0
	v_cvt_f32_i32_e32 v43, v43
	v_fma_f32 v40, v30, v40, -v31
	v_fmac_f32_e32 v47, v42, v36
	v_dot4c_i32_i8 v41, v231, v116
	v_mov_b32_e32 v42, 0
	v_dot4c_i32_i8 v44, v233, v117
	v_fma_f32 v43, v30, v43, -v31
	v_fmac_f32_e32 v47, v40, v36
	v_cvt_f32_i32_e32 v40, v41
	v_dot4c_i32_i8 v42, v234, v118
	v_cvt_f32_i32_e32 v41, v44
	s_andn2_b32 vcc_lo, exec_lo, s4
	v_fmac_f32_e32 v47, v43, v36
	v_fma_f32 v36, v32, v40, -v33
	v_mov_b32_e32 v40, 0
	v_cvt_f32_i32_e32 v42, v42
	v_fma_f32 v41, v32, v41, -v33
	v_fmac_f32_e32 v47, v36, v35
	v_dot4c_i32_i8 v40, v235, v119
	v_fma_f32 v36, v32, v42, -v33
	v_fmac_f32_e32 v47, v41, v35
	v_cvt_f32_i32_e32 v40, v40
	v_fmac_f32_e32 v47, v36, v35
	v_fma_f32 v36, v32, v40, -v33
	v_fmac_f32_e32 v47, v36, v35
	ds_bpermute_b32 v35, v155, v47
	s_waitcnt lgkmcnt(0)
	v_add_f32_e32 v40, v47, v35
	s_cbranch_vccnz .LBB28_26
; %bb.25:                               ;   in Loop: Header=BB28_22 Depth=1
	v_add_co_u32 v35, vcc_lo, s8, v120
	v_add_co_ci_u32_e64 v36, null, s9, v121, vcc_lo
	global_load_ushort v35, v[35:36], off
	s_waitcnt vmcnt(0)
	v_fma_mix_f32 v40, v133, v35, v40 op_sel_hi:[0,1,0]
.LBB28_26:                              ;   in Loop: Header=BB28_22 Depth=1
	v_add_co_u32 v48, vcc_lo, s13, v159
	v_add_co_ci_u32_e64 v49, null, s16, v161, vcc_lo
	v_mov_b32_e32 v231, 0
	v_add_co_u32 v50, vcc_lo, v48, v137
	v_add_co_ci_u32_e64 v51, null, 0, v49, vcc_lo
	s_clause 0x17
	global_load_ushort v42, v[48:49], off
	global_load_ushort v43, v[48:49], off offset:18
	global_load_ushort v44, v[48:49], off offset:36
	;; [unrolled: 1-line block ×7, first 2 shown]
	global_load_dword v52, v[50:51], off offset:2
	global_load_dword v53, v[50:51], off offset:10
	;; [unrolled: 1-line block ×16, first 2 shown]
	v_mov_b32_e32 v50, 0
	v_mov_b32_e32 v51, 0
	;; [unrolled: 1-line block ×7, first 2 shown]
	s_andn2_b32 vcc_lo, exec_lo, s19
	s_waitcnt vmcnt(15)
	v_and_b32_e32 v48, 0xf0f0f0f, v52
	s_waitcnt vmcnt(14)
	v_and_b32_e32 v49, 0xf0f0f0f, v53
	;; [unrolled: 2-line block ×5, first 2 shown]
	v_dot4c_i32_i8 v50, v48, v56
	v_dot4c_i32_i8 v51, v49, v57
	s_waitcnt vmcnt(10)
	v_and_b32_e32 v219, 0xf0f0f0f, v129
	s_waitcnt vmcnt(9)
	v_and_b32_e32 v222, 0xf0f0f0f, v220
	;; [unrolled: 2-line block ×3, first 2 shown]
	v_cvt_f32_i32_e32 v50, v50
	v_cvt_f32_i32_e32 v51, v51
	s_waitcnt vmcnt(7)
	v_and_b32_e32 v224, 0xf0f0f0f, v226
	s_waitcnt vmcnt(6)
	v_and_b32_e32 v225, 0xf0f0f0f, v227
	v_fma_f32 v50, v2, v50, -v3
	v_fma_f32 v51, v2, v51, -v3
	v_fma_mix_f32 v50, v50, v42, 0 op_sel_hi:[0,1,0]
	v_fma_mix_f32 v51, v51, v42, v50 op_sel_hi:[0,1,0]
	v_lshrrev_b32_e32 v50, 4, v52
	v_mov_b32_e32 v52, 0
	v_and_b32_e32 v50, 0xf0f0f0f, v50
	v_dot4c_i32_i8 v52, v50, v58
	v_cvt_f32_i32_e32 v52, v52
	v_fma_f32 v52, v2, v52, -v3
	v_fma_mix_f32 v52, v52, v42, v51 op_sel_hi:[0,1,0]
	v_lshrrev_b32_e32 v51, 4, v53
	v_mov_b32_e32 v53, 0
	v_and_b32_e32 v51, 0xf0f0f0f, v51
	v_dot4c_i32_i8 v53, v51, v59
	v_cvt_f32_i32_e32 v53, v53
	v_fma_f32 v53, v2, v53, -v3
	v_fma_mix_f32 v52, v53, v42, v52 op_sel_hi:[0,1,0]
	v_mov_b32_e32 v53, 0
	v_dot4c_i32_i8 v53, v126, v60
	v_cvt_f32_i32_e32 v53, v53
	v_fma_f32 v53, v4, v53, -v5
	v_fma_mix_f32 v52, v53, v43, v52 op_sel_hi:[0,1,0]
	v_mov_b32_e32 v53, 0
	v_dot4c_i32_i8 v53, v127, v61
	v_cvt_f32_i32_e32 v53, v53
	v_fma_f32 v53, v4, v53, -v5
	v_fma_mix_f32 v53, v53, v43, v52 op_sel_hi:[0,1,0]
	v_lshrrev_b32_e32 v52, 4, v124
	v_mov_b32_e32 v124, 0
	v_and_b32_e32 v52, 0xf0f0f0f, v52
	v_dot4c_i32_i8 v124, v52, v62
	v_cvt_f32_i32_e32 v124, v124
	v_fma_f32 v124, v4, v124, -v5
	v_fma_mix_f32 v124, v124, v43, v53 op_sel_hi:[0,1,0]
	v_lshrrev_b32_e32 v53, 4, v125
	v_mov_b32_e32 v125, 0
	v_and_b32_e32 v53, 0xf0f0f0f, v53
	v_dot4c_i32_i8 v125, v53, v63
	v_cvt_f32_i32_e32 v125, v125
	v_fma_f32 v125, v4, v125, -v5
	v_fma_mix_f32 v124, v125, v43, v124 op_sel_hi:[0,1,0]
	v_mov_b32_e32 v125, 0
	v_dot4c_i32_i8 v125, v218, v64
	v_cvt_f32_i32_e32 v125, v125
	v_fma_f32 v125, v6, v125, -v7
	v_fma_mix_f32 v124, v125, v44, v124 op_sel_hi:[0,1,0]
	v_mov_b32_e32 v125, 0
	v_dot4c_i32_i8 v125, v219, v65
	v_cvt_f32_i32_e32 v125, v125
	v_fma_f32 v125, v6, v125, -v7
	;; [unrolled: 24-line block ×4, first 2 shown]
	v_fma_mix_f32 v221, v221, v46, v220 op_sel_hi:[0,1,0]
	v_lshrrev_b32_e32 v220, 4, v226
	v_mov_b32_e32 v226, 0
	v_and_b32_e32 v220, 0xf0f0f0f, v220
	v_dot4c_i32_i8 v226, v220, v74
	v_cvt_f32_i32_e32 v226, v226
	v_fma_f32 v226, v10, v226, -v11
	v_fma_mix_f32 v226, v226, v46, v221 op_sel_hi:[0,1,0]
	v_lshrrev_b32_e32 v221, 4, v227
	v_mov_b32_e32 v227, 0
	v_and_b32_e32 v221, 0xf0f0f0f, v221
	v_dot4c_i32_i8 v227, v221, v75
	v_cvt_f32_i32_e32 v227, v227
	v_fma_f32 v227, v10, v227, -v11
	v_fma_mix_f32 v227, v227, v46, v226 op_sel_hi:[0,1,0]
	s_waitcnt vmcnt(5)
	v_and_b32_e32 v226, 0xf0f0f0f, v228
	v_lshrrev_b32_e32 v228, 4, v228
	v_dot4c_i32_i8 v231, v226, v76
	v_and_b32_e32 v228, 0xf0f0f0f, v228
	v_cvt_f32_i32_e32 v231, v231
	v_fma_f32 v231, v12, v231, -v13
	v_fma_mix_f32 v231, v231, v47, v227 op_sel_hi:[0,1,0]
	s_waitcnt vmcnt(4)
	v_and_b32_e32 v227, 0xf0f0f0f, v229
	v_lshrrev_b32_e32 v229, 4, v229
	v_dot4c_i32_i8 v232, v227, v77
	v_and_b32_e32 v229, 0xf0f0f0f, v229
	v_cvt_f32_i32_e32 v232, v232
	v_fma_f32 v232, v12, v232, -v13
	v_fma_mix_f32 v231, v232, v47, v231 op_sel_hi:[0,1,0]
	v_mov_b32_e32 v232, 0
	v_dot4c_i32_i8 v232, v228, v78
	v_cvt_f32_i32_e32 v232, v232
	v_fma_f32 v232, v12, v232, -v13
	v_fma_mix_f32 v231, v232, v47, v231 op_sel_hi:[0,1,0]
	v_mov_b32_e32 v232, 0
	v_dot4c_i32_i8 v232, v229, v79
	v_cvt_f32_i32_e32 v232, v232
	v_fma_f32 v232, v12, v232, -v13
	v_fma_mix_f32 v231, v232, v47, v231 op_sel_hi:[0,1,0]
	s_waitcnt vmcnt(3)
	v_and_b32_e32 v232, 0xf0f0f0f, v230
	v_lshrrev_b32_e32 v230, 4, v230
	v_dot4c_i32_i8 v234, v232, v80
	v_and_b32_e32 v230, 0xf0f0f0f, v230
	v_cvt_f32_i32_e32 v234, v234
	v_fma_f32 v234, v14, v234, -v15
	v_fma_mix_f32 v234, v234, v36, v231 op_sel_hi:[0,1,0]
	s_waitcnt vmcnt(2)
	v_and_b32_e32 v231, 0xf0f0f0f, v233
	v_lshrrev_b32_e32 v233, 4, v233
	v_dot4c_i32_i8 v235, v231, v81
	v_cvt_f32_i32_e32 v235, v235
	v_fma_f32 v235, v14, v235, -v15
	v_fma_mix_f32 v234, v235, v36, v234 op_sel_hi:[0,1,0]
	v_mov_b32_e32 v235, 0
	v_dot4c_i32_i8 v235, v230, v82
	v_cvt_f32_i32_e32 v235, v235
	v_fma_f32 v235, v14, v235, -v15
	v_fma_mix_f32 v235, v235, v36, v234 op_sel_hi:[0,1,0]
	v_and_b32_e32 v234, 0xf0f0f0f, v233
	v_mov_b32_e32 v233, 0
	v_dot4c_i32_i8 v233, v234, v83
	v_cvt_f32_i32_e32 v233, v233
	v_fma_f32 v233, v14, v233, -v15
	v_fma_mix_f32 v235, v233, v36, v235 op_sel_hi:[0,1,0]
	s_waitcnt vmcnt(1)
	v_and_b32_e32 v233, 0xf0f0f0f, v236
	v_lshrrev_b32_e32 v236, 4, v236
	v_dot4c_i32_i8 v237, v233, v84
	v_and_b32_e32 v236, 0xf0f0f0f, v236
	v_cvt_f32_i32_e32 v237, v237
	v_fma_f32 v237, v16, v237, -v17
	v_fma_mix_f32 v237, v237, v35, v235 op_sel_hi:[0,1,0]
	s_waitcnt vmcnt(0)
	v_and_b32_e32 v235, 0xf0f0f0f, v41
	v_lshrrev_b32_e32 v41, 4, v41
	v_dot4c_i32_i8 v238, v235, v85
	v_cvt_f32_i32_e32 v238, v238
	v_fma_f32 v238, v16, v238, -v17
	v_fma_mix_f32 v237, v238, v35, v237 op_sel_hi:[0,1,0]
	v_mov_b32_e32 v238, 0
	v_dot4c_i32_i8 v238, v236, v86
	v_cvt_f32_i32_e32 v238, v238
	v_fma_f32 v238, v16, v238, -v17
	v_fma_mix_f32 v238, v238, v35, v237 op_sel_hi:[0,1,0]
	v_and_b32_e32 v237, 0xf0f0f0f, v41
	v_mov_b32_e32 v41, 0
	v_dot4c_i32_i8 v41, v237, v87
	v_cvt_f32_i32_e32 v41, v41
	v_fma_f32 v41, v16, v41, -v17
	v_fma_mix_f32 v41, v41, v35, v238 op_sel_hi:[0,1,0]
	ds_bpermute_b32 v238, v155, v41
	s_waitcnt lgkmcnt(0)
	v_add_f32_e32 v41, v41, v238
	s_cbranch_vccnz .LBB28_28
; %bb.27:                               ;   in Loop: Header=BB28_22 Depth=1
	global_load_ushort v34, v34, s[8:9] offset:2
	s_waitcnt vmcnt(0)
	v_fma_mix_f32 v41, v133, v34, v41 op_sel_hi:[0,1,0]
.LBB28_28:                              ;   in Loop: Header=BB28_22 Depth=1
	v_mov_b32_e32 v34, 0
	v_mov_b32_e32 v238, 0
	v_cvt_f32_f16_e32 v42, v42
	v_cvt_f32_f16_e32 v43, v43
	v_cvt_f32_f16_e32 v44, v44
	v_dot4c_i32_i8 v34, v48, v88
	v_mov_b32_e32 v48, 0
	v_dot4c_i32_i8 v238, v49, v89
	v_mov_b32_e32 v49, 0
	v_cvt_f32_f16_e32 v45, v45
	v_cvt_f32_i32_e32 v34, v34
	v_dot4c_i32_i8 v48, v50, v90
	v_cvt_f32_i32_e32 v50, v238
	v_mov_b32_e32 v238, 0
	v_dot4c_i32_i8 v49, v51, v91
	v_fma_f32 v34, v18, v34, -v19
	v_cvt_f32_i32_e32 v48, v48
	v_fma_f32 v50, v18, v50, -v19
	v_mov_b32_e32 v51, 0
	v_dot4c_i32_i8 v238, v126, v92
	v_fma_f32 v34, v34, v42, 0
	v_cvt_f32_i32_e32 v49, v49
	v_fma_f32 v48, v18, v48, -v19
	v_dot4c_i32_i8 v51, v127, v93
	v_cvt_f32_i32_e32 v126, v238
	v_fmac_f32_e32 v34, v50, v42
	v_mov_b32_e32 v50, 0
	v_fma_f32 v49, v18, v49, -v19
	v_cvt_f32_i32_e32 v51, v51
	v_cvt_f32_f16_e32 v46, v46
	v_fmac_f32_e32 v34, v48, v42
	v_mov_b32_e32 v48, 0
	v_dot4c_i32_i8 v50, v52, v94
	v_fma_f32 v52, v20, v126, -v21
	v_cvt_f32_f16_e32 v47, v47
	v_fmac_f32_e32 v34, v49, v42
	v_mov_b32_e32 v42, 0
	v_dot4c_i32_i8 v48, v53, v95
	v_cvt_f32_i32_e32 v49, v50
	v_fma_f32 v50, v20, v51, -v21
	v_fmac_f32_e32 v34, v52, v43
	v_mov_b32_e32 v51, 0
	v_dot4c_i32_i8 v42, v218, v96
	v_cvt_f32_i32_e32 v48, v48
	v_fma_f32 v49, v20, v49, -v21
	;; [unrolled: 5-line block ×15, first 2 shown]
	v_fmac_f32_e32 v34, v42, v46
	v_dot4c_i32_i8 v43, v228, v110
	v_cvt_f32_i32_e32 v42, v44
	v_fma_f32 v44, v28, v45, -v29
	v_mov_b32_e32 v45, 0
	v_fmac_f32_e32 v34, v48, v46
	v_mov_b32_e32 v46, 0
	v_cvt_f32_i32_e32 v43, v43
	v_fma_f32 v42, v28, v42, -v29
	v_dot4c_i32_i8 v45, v229, v111
	v_fmac_f32_e32 v34, v44, v47
	v_dot4c_i32_i8 v46, v232, v112
	v_mov_b32_e32 v44, 0
	v_fma_f32 v43, v28, v43, -v29
	v_cvt_f32_f16_e32 v36, v36
	v_fmac_f32_e32 v34, v42, v47
	v_cvt_f32_i32_e32 v42, v45
	v_cvt_f32_i32_e32 v45, v46
	v_mov_b32_e32 v46, 0
	v_dot4c_i32_i8 v44, v231, v113
	v_fmac_f32_e32 v34, v43, v47
	v_fma_f32 v42, v28, v42, -v29
	v_fma_f32 v43, v30, v45, -v31
	v_mov_b32_e32 v45, 0
	v_dot4c_i32_i8 v46, v230, v114
	v_cvt_f32_i32_e32 v44, v44
	v_fmac_f32_e32 v34, v42, v47
	v_cvt_f32_f16_e32 v35, v35
	v_dot4c_i32_i8 v45, v234, v115
	v_cvt_f32_i32_e32 v42, v46
	v_fma_f32 v44, v30, v44, -v31
	v_fmac_f32_e32 v34, v43, v36
	v_mov_b32_e32 v43, 0
	v_mov_b32_e32 v46, 0
	v_cvt_f32_i32_e32 v45, v45
	v_fma_f32 v42, v30, v42, -v31
	v_fmac_f32_e32 v34, v44, v36
	v_dot4c_i32_i8 v43, v233, v116
	v_mov_b32_e32 v44, 0
	v_dot4c_i32_i8 v46, v235, v117
	v_fma_f32 v45, v30, v45, -v31
	v_fmac_f32_e32 v34, v42, v36
	v_cvt_f32_i32_e32 v42, v43
	v_dot4c_i32_i8 v44, v236, v118
	v_cvt_f32_i32_e32 v43, v46
	s_andn2_b32 vcc_lo, exec_lo, s4
	v_fmac_f32_e32 v34, v45, v36
	v_fma_f32 v36, v32, v42, -v33
	v_mov_b32_e32 v42, 0
	v_cvt_f32_i32_e32 v44, v44
	v_fma_f32 v43, v32, v43, -v33
	v_fmac_f32_e32 v34, v36, v35
	v_dot4c_i32_i8 v42, v237, v119
	v_fma_f32 v36, v32, v44, -v33
	v_fmac_f32_e32 v34, v43, v35
	v_cvt_f32_i32_e32 v42, v42
	v_fmac_f32_e32 v34, v36, v35
	v_fma_f32 v36, v32, v42, -v33
	v_fmac_f32_e32 v34, v36, v35
	ds_bpermute_b32 v35, v155, v34
	s_waitcnt lgkmcnt(0)
	v_add_f32_e32 v42, v34, v35
	s_cbranch_vccnz .LBB28_21
; %bb.29:                               ;   in Loop: Header=BB28_22 Depth=1
	v_add_co_u32 v34, vcc_lo, s8, v122
	v_add_co_ci_u32_e64 v35, null, s9, v123, vcc_lo
	global_load_ushort v34, v[34:35], off offset:2
	s_waitcnt vmcnt(0)
	v_fma_mix_f32 v42, v133, v34, v42 op_sel_hi:[0,1,0]
	s_branch .LBB28_21
.LBB28_30:
	s_cmp_eq_u64 s[20:21], 0
	s_cselect_b32 s1, -1, 0
	s_cmp_lg_u32 s34, 0
	s_cselect_b32 s2, -1, 0
	s_or_b32 s1, s2, s1
	s_nor_b32 s0, s1, s0
	s_and_saveexec_b32 s1, s0
	s_cbranch_execz .LBB28_32
; %bb.31:
	s_ashr_i32 s39, s38, 31
	v_cmp_eq_u32_e32 vcc_lo, 1, v1
	s_lshl_b64 s[2:3], s[38:39], 2
	v_lshl_add_u32 v11, v1, 4, v135
	s_add_u32 s2, s20, s2
	s_addc_u32 s3, s21, s3
	v_cndmask_b32_e32 v2, v124, v125, vcc_lo
	s_load_dword s0, s[2:3], 0x0
	v_max_f32_e32 v3, v2, v2
	s_waitcnt lgkmcnt(0)
	v_max_f32_e64 v4, s0, s0
	v_max_f32_e32 v6, v3, v4
	v_sub_f32_e32 v7, v2, v6
	v_sub_f32_e32 v8, s0, v6
	v_cndmask_b32_e32 v125, v125, v6, vcc_lo
	v_mul_f32_e32 v2, 0x3fb8aa3b, v7
	v_mul_f32_e32 v3, 0x3fb8aa3b, v8
	v_cmp_ngt_f32_e64 s0, 0xc2ce8ed0, v7
	v_fma_f32 v4, 0x3fb8aa3b, v7, -v2
	v_rndne_f32_e32 v5, v2
	v_fma_f32 v9, 0x3fb8aa3b, v8, -v3
	v_rndne_f32_e32 v10, v3
	v_fmac_f32_e32 v4, 0x32a5705f, v7
	v_sub_f32_e32 v2, v2, v5
	v_fmac_f32_e32 v9, 0x32a5705f, v8
	v_sub_f32_e32 v3, v3, v10
	v_cvt_i32_f32_e32 v10, v10
	v_add_f32_e32 v2, v2, v4
	v_add_f32_e32 v3, v3, v9
	v_exp_f32_e32 v2, v2
	v_exp_f32_e32 v9, v3
	v_cvt_i32_f32_e32 v3, v5
	v_ldexp_f32 v12, v2, v3
	ds_read_b128 v[2:5], v11
	v_ldexp_f32 v9, v9, v10
	v_cndmask_b32_e64 v10, 0, v12, s0
	v_cmp_ngt_f32_e64 s0, 0xc2ce8ed0, v8
	v_cndmask_b32_e32 v12, v54, v55, vcc_lo
	v_cndmask_b32_e64 v9, 0, v9, s0
	v_cmp_nlt_f32_e64 s0, 0x42b17218, v7
	v_cndmask_b32_e64 v7, 0x7f800000, v10, s0
	v_cmp_nlt_f32_e64 s0, 0x42b17218, v8
	v_mov_b32_e32 v10, 0x10001
	v_cndmask_b32_e64 v8, 0x7f800000, v9, s0
	v_cmp_eq_u32_e64 s0, 0, v0
	v_cvt_f16_f32_e32 v9, v7
	v_cndmask_b32_e64 v8, 0, v8, s0
	v_mul_u32_u24_sdwa v9, v9, v10 dst_sel:DWORD dst_unused:UNUSED_PAD src0_sel:WORD_0 src1_sel:DWORD
	v_cmp_eq_u32_e64 s0, 0, v1
	v_fmac_f32_e32 v8, v12, v7
	s_waitcnt lgkmcnt(0)
	v_pk_mul_f16 v2, v2, v9
	v_cndmask_b32_e64 v124, v124, v6, s0
	v_pk_mul_f16 v3, v3, v9
	v_pk_mul_f16 v4, v4, v9
	;; [unrolled: 1-line block ×3, first 2 shown]
	v_cndmask_b32_e32 v55, v55, v8, vcc_lo
	v_cndmask_b32_e64 v54, v54, v8, s0
	ds_write_b128 v11, v[2:5]
.LBB28_32:
	s_or_b32 exec_lo, exec_lo, s1
	v_add_nc_u32_e32 v4, 0x900, v131
	v_or_b32_e32 v10, 0x800, v131
	s_mov_b32 s0, exec_lo
	v_cmpx_eq_u32_e32 0, v1
	s_cbranch_execz .LBB28_34
; %bb.33:
	v_mov_b32_e32 v2, 0xfeffffff
	v_mov_b32_e32 v3, 0
	ds_write2_b32 v10, v2, v2 offset1:32
	ds_write2_b32 v4, v3, v3 offset1:32
.LBB28_34:
	s_or_b32 exec_lo, exec_lo, s0
	v_cmp_eq_u32_e64 s0, 0, v0
	s_waitcnt lgkmcnt(0)
	s_barrier
	buffer_gl0_inv
	s_and_saveexec_b32 s1, s0
; %bb.35:
	v_lshlrev_b32_e32 v2, 2, v1
	v_add_nc_u32_e32 v2, 0x800, v2
	ds_write2_b32 v2, v124, v125 offset1:32
; %bb.36:
	s_or_b32 exec_lo, exec_lo, s1
	s_cmp_lt_i32 s35, s36
	s_waitcnt lgkmcnt(0)
	s_barrier
	buffer_gl0_inv
	s_cbranch_scc1 .LBB28_38
; %bb.37:
	s_load_dword s3, s[6:7], 0xd4
	s_cbranch_execz .LBB28_39
	s_branch .LBB28_46
.LBB28_38:
                                        ; implicit-def: $sgpr3
.LBB28_39:
	ds_read_b32 v2, v10
	v_xor_b32_e32 v3, 16, v136
	v_xor_b32_e32 v6, 8, v136
	;; [unrolled: 1-line block ×4, first 2 shown]
	s_waitcnt lgkmcnt(0)
	s_load_dword s3, s[6:7], 0xd4
	v_cmp_gt_i32_e32 vcc_lo, 32, v3
	v_lshlrev_b32_e32 v21, 3, v0
	v_lshl_add_u32 v1, v1, 2, 0x900
	v_cndmask_b32_e32 v3, v136, v3, vcc_lo
	v_cmp_gt_i32_e32 vcc_lo, 32, v6
	v_lshlrev_b32_e32 v5, 2, v3
	v_cndmask_b32_e32 v6, v136, v6, vcc_lo
	v_cmp_gt_i32_e32 vcc_lo, 32, v7
	ds_bpermute_b32 v3, v5, v2
	v_max_f32_e32 v2, v2, v2
	v_lshlrev_b32_e32 v6, 2, v6
	v_cndmask_b32_e32 v7, v136, v7, vcc_lo
	v_cmp_gt_i32_e32 vcc_lo, 32, v8
	v_lshlrev_b32_e32 v7, 2, v7
	v_cndmask_b32_e32 v8, v136, v8, vcc_lo
	v_lshlrev_b32_e32 v9, 2, v8
	v_xor_b32_e32 v8, 1, v136
	v_cmp_gt_i32_e32 vcc_lo, 32, v8
	s_waitcnt lgkmcnt(0)
	v_max_f32_e32 v3, v3, v3
	v_cndmask_b32_e32 v8, v136, v8, vcc_lo
	v_max_f32_e32 v2, v2, v3
	v_lshlrev_b32_e32 v8, 2, v8
	ds_bpermute_b32 v3, v6, v2
	s_waitcnt lgkmcnt(0)
	v_max_f32_e32 v3, v3, v3
	v_max_f32_e32 v2, v2, v3
	ds_bpermute_b32 v3, v7, v2
	s_waitcnt lgkmcnt(0)
	v_max_f32_e32 v3, v3, v3
	v_max_f32_e32 v2, v2, v3
	;; [unrolled: 4-line block ×4, first 2 shown]
	v_sub_f32_e32 v3, v124, v2
	v_mul_f32_e32 v11, 0x3fb8aa3b, v3
	v_cmp_ngt_f32_e32 vcc_lo, 0xc2ce8ed0, v3
	v_fma_f32 v12, 0x3fb8aa3b, v3, -v11
	v_rndne_f32_e32 v13, v11
	v_fmamk_f32 v12, v3, 0x32a5705f, v12
	v_sub_f32_e32 v11, v11, v13
	v_add_f32_e32 v11, v11, v12
	v_cvt_i32_f32_e32 v12, v13
	v_exp_f32_e32 v11, v11
	v_ldexp_f32 v11, v11, v12
	v_cndmask_b32_e32 v11, 0, v11, vcc_lo
	v_cmp_nlt_f32_e32 vcc_lo, 0x42b17218, v3
	v_cndmask_b32_e32 v3, 0x7f800000, v11, vcc_lo
	v_mul_f32_e32 v11, v3, v54
	ds_bpermute_b32 v11, v5, v11
	s_waitcnt lgkmcnt(0)
	v_fmac_f32_e32 v11, v3, v54
	v_cvt_f16_f32_e32 v3, v3
	ds_bpermute_b32 v12, v6, v11
	s_waitcnt lgkmcnt(0)
	v_add_f32_e32 v11, v11, v12
	ds_bpermute_b32 v12, v7, v11
	s_waitcnt lgkmcnt(0)
	v_add_f32_e32 v15, v11, v12
	ds_read_b128 v[11:14], v135
	ds_bpermute_b32 v16, v9, v15
	s_waitcnt lgkmcnt(0)
	v_add_f32_e32 v19, v15, v16
	v_mov_b32_e32 v15, 0x10001
	ds_bpermute_b32 v20, v8, v19
	v_mul_u32_u24_sdwa v3, v3, v15 dst_sel:DWORD dst_unused:UNUSED_PAD src0_sel:WORD_0 src1_sel:DWORD
	v_pk_mul_f16 v15, v11, v3
	v_pk_mul_f16 v16, v12, v3
	;; [unrolled: 1-line block ×4, first 2 shown]
	v_add_nc_u32_e32 v11, v130, v21
	ds_write_b128 v135, v[15:18]
	ds_write2_b64 v11, v[15:16], v[17:18] offset1:32
	s_waitcnt lgkmcnt(2)
	v_add_f32_e32 v3, v19, v20
	s_and_saveexec_b32 s1, s0
; %bb.40:
	ds_write_b32 v1, v3
; %bb.41:
	s_or_b32 exec_lo, exec_lo, s1
	s_waitcnt lgkmcnt(0)
	s_barrier
	buffer_gl0_inv
	ds_read_b32 v3, v4
	ds_read_u16 v12, v134
	ds_read_u16 v13, v134 offset:1280
	ds_read_u16 v14, v134 offset:768
	;; [unrolled: 1-line block ×6, first 2 shown]
	s_cmp_eq_u32 s3, 1
	s_mul_i32 s4, s33, s36
	s_cselect_b32 s1, -1, 0
	s_add_i32 s4, s4, s35
	s_mul_i32 s4, s4, s37
	s_add_i32 s4, s4, s38
	s_mul_i32 s5, s3, s4
	s_add_i32 s5, s5, s34
	s_waitcnt lgkmcnt(7)
	ds_bpermute_b32 v16, v5, v3
	s_waitcnt lgkmcnt(7)
	v_cvt_f32_f16_e32 v12, v12
	s_waitcnt lgkmcnt(6)
	v_cvt_f32_f16_e32 v13, v13
	;; [unrolled: 2-line block ×5, first 2 shown]
	v_add_f32_e32 v12, 0, v12
	v_cvt_f32_f16_e32 v15, v15
	v_add_f32_e32 v12, v12, v17
	ds_read_u16 v17, v134 offset:1792
	v_add_f32_e32 v12, v12, v18
	s_waitcnt lgkmcnt(1)
	v_add_f32_e32 v3, v3, v16
	v_add_f32_e32 v18, v12, v19
	;; [unrolled: 1-line block ×3, first 2 shown]
	ds_bpermute_b32 v16, v6, v3
	s_waitcnt lgkmcnt(1)
	v_cvt_f32_f16_e32 v15, v17
	s_waitcnt lgkmcnt(0)
	v_add_f32_e32 v3, v3, v16
	ds_bpermute_b32 v16, v7, v3
	s_waitcnt lgkmcnt(0)
	v_add_f32_e32 v3, v3, v16
	ds_bpermute_b32 v16, v9, v3
	;; [unrolled: 3-line block ×3, first 2 shown]
	s_waitcnt lgkmcnt(0)
	v_add_f32_e32 v54, v3, v16
	v_cvt_f32_f16_e32 v3, v14
	v_div_scale_f32 v14, null, v54, v54, v18
	v_add_f32_e32 v3, v12, v3
	v_div_scale_f32 v16, vcc_lo, v18, v54, v18
	v_rcp_f32_e32 v12, v14
	v_add_f32_e32 v3, v3, v13
	v_add_f32_e32 v3, v3, v15
	v_fma_f32 v13, -v14, v12, 1.0
	v_div_scale_f32 v15, null, v54, v54, v3
	v_fmac_f32_e32 v12, v13, v12
	v_rcp_f32_e32 v17, v15
	v_mul_f32_e32 v13, v16, v12
	v_fma_f32 v19, -v14, v13, v16
	v_fma_f32 v20, -v15, v17, 1.0
	v_fmac_f32_e32 v13, v19, v12
	v_div_scale_f32 v19, s2, v3, v54, v3
	v_fmac_f32_e32 v17, v20, v17
	v_fma_f32 v14, -v14, v13, v16
	v_mul_f32_e32 v16, v19, v17
	v_div_fmas_f32 v12, v14, v12, v13
	s_mov_b32 vcc_lo, s2
	s_or_b32 s2, s35, 1
	v_fma_f32 v13, -v15, v16, v19
	s_cmp_ge_i32 s2, s36
	v_div_fixup_f32 v14, v12, v54, v18
	v_lshl_or_b32 v12, s5, 8, v132
	v_fmac_f32_e32 v16, v13, v17
	v_mov_b32_e32 v13, 0
	v_cndmask_b32_e64 v14, v18, v14, s1
	v_fma_f32 v15, -v15, v16, v19
	v_lshlrev_b64 v[12:13], 2, v[12:13]
	v_div_fmas_f32 v15, v15, v17, v16
	v_add_co_u32 v12, vcc_lo, s24, v12
	v_add_co_ci_u32_e64 v13, null, s25, v13, vcc_lo
	v_div_fixup_f32 v15, v15, v54, v3
	v_cndmask_b32_e64 v15, v3, v15, s1
	v_mov_b32_e32 v3, v125
	global_store_dword v[12:13], v14, off
	global_store_dword v[12:13], v15, off offset:512
	s_waitcnt_vscnt null, 0x0
	s_barrier
	buffer_gl0_inv
	s_cbranch_scc1 .LBB28_45
; %bb.42:
	ds_read_b32 v3, v10 offset:128
	v_mov_b32_e32 v18, 0x10001
	s_waitcnt lgkmcnt(0)
	ds_bpermute_b32 v10, v5, v3
	v_max_f32_e32 v3, v3, v3
	s_waitcnt lgkmcnt(0)
	v_max_f32_e32 v10, v10, v10
	v_max_f32_e32 v3, v3, v10
	ds_bpermute_b32 v10, v6, v3
	s_waitcnt lgkmcnt(0)
	v_max_f32_e32 v10, v10, v10
	v_max_f32_e32 v3, v3, v10
	ds_bpermute_b32 v10, v7, v3
	;; [unrolled: 4-line block ×4, first 2 shown]
	s_waitcnt lgkmcnt(0)
	v_max_f32_e32 v10, v10, v10
	v_max_f32_e32 v3, v3, v10
	v_sub_f32_e32 v10, v125, v3
	v_mul_f32_e32 v12, 0x3fb8aa3b, v10
	v_cmp_ngt_f32_e32 vcc_lo, 0xc2ce8ed0, v10
	v_fma_f32 v13, 0x3fb8aa3b, v10, -v12
	v_rndne_f32_e32 v14, v12
	v_fmamk_f32 v13, v10, 0x32a5705f, v13
	v_sub_f32_e32 v12, v12, v14
	v_add_f32_e32 v12, v12, v13
	v_cvt_i32_f32_e32 v13, v14
	v_exp_f32_e32 v12, v12
	v_ldexp_f32 v12, v12, v13
	v_cndmask_b32_e32 v12, 0, v12, vcc_lo
	v_cmp_nlt_f32_e32 vcc_lo, 0x42b17218, v10
	v_cndmask_b32_e32 v10, 0x7f800000, v12, vcc_lo
	v_mul_f32_e32 v12, v10, v55
	ds_bpermute_b32 v12, v5, v12
	s_waitcnt lgkmcnt(0)
	v_fmac_f32_e32 v12, v10, v55
	v_cvt_f16_f32_e32 v10, v10
	ds_bpermute_b32 v13, v6, v12
	v_mul_u32_u24_sdwa v10, v10, v18 dst_sel:DWORD dst_unused:UNUSED_PAD src0_sel:WORD_0 src1_sel:DWORD
	s_waitcnt lgkmcnt(0)
	v_add_f32_e32 v12, v12, v13
	ds_bpermute_b32 v13, v7, v12
	s_waitcnt lgkmcnt(0)
	v_add_f32_e32 v16, v12, v13
	ds_read_b128 v[12:15], v135 offset:16
	ds_bpermute_b32 v17, v9, v16
	s_waitcnt lgkmcnt(1)
	v_pk_mul_f16 v12, v12, v10
	v_pk_mul_f16 v13, v13, v10
	;; [unrolled: 1-line block ×4, first 2 shown]
	s_waitcnt lgkmcnt(0)
	v_add_f32_e32 v16, v16, v17
	ds_write_b128 v135, v[12:15] offset:16
	ds_write2_b64 v11, v[12:13], v[14:15] offset1:32
	ds_bpermute_b32 v17, v8, v16
	s_waitcnt lgkmcnt(0)
	v_add_f32_e32 v10, v16, v17
	s_and_saveexec_b32 s2, s0
; %bb.43:
	ds_write_b32 v1, v10 offset:128
; %bb.44:
	s_or_b32 exec_lo, exec_lo, s2
	s_waitcnt lgkmcnt(0)
	s_barrier
	buffer_gl0_inv
	ds_read_b32 v1, v4 offset:128
	ds_read_u16 v4, v134
	ds_read_u16 v10, v134 offset:1280
	ds_read_u16 v11, v134 offset:768
	;; [unrolled: 1-line block ×3, first 2 shown]
	s_add_i32 s4, s4, s37
	s_mul_i32 s2, s3, s4
	s_add_i32 s2, s2, s34
	s_waitcnt lgkmcnt(4)
	ds_bpermute_b32 v5, v5, v1
	s_waitcnt lgkmcnt(4)
	v_cvt_f32_f16_e32 v4, v4
	s_waitcnt lgkmcnt(2)
	v_cvt_f32_f16_e32 v11, v11
	;; [unrolled: 2-line block ×3, first 2 shown]
	v_add_f32_e32 v4, 0, v4
	v_add_f32_e32 v12, 0, v12
	s_waitcnt lgkmcnt(0)
	v_add_f32_e32 v1, v1, v5
	ds_bpermute_b32 v5, v6, v1
	s_waitcnt lgkmcnt(0)
	v_add_f32_e32 v1, v1, v5
	ds_bpermute_b32 v5, v7, v1
	;; [unrolled: 3-line block ×3, first 2 shown]
	ds_read_u16 v6, v134 offset:512
	ds_read_u16 v7, v134 offset:1024
	;; [unrolled: 1-line block ×3, first 2 shown]
	s_waitcnt lgkmcnt(2)
	v_cvt_f32_f16_e32 v6, v6
	v_add_f32_e32 v1, v1, v5
	ds_read_u16 v5, v134 offset:1792
	s_waitcnt lgkmcnt(2)
	v_cvt_f32_f16_e32 v7, v7
	s_waitcnt lgkmcnt(1)
	v_cvt_f32_f16_e32 v9, v9
	v_add_f32_e32 v4, v4, v6
	ds_bpermute_b32 v8, v8, v1
	v_cvt_f32_f16_e32 v6, v10
	v_add_f32_e32 v10, v12, v11
	v_add_f32_e32 v4, v4, v7
	;; [unrolled: 1-line block ×4, first 2 shown]
	s_waitcnt lgkmcnt(1)
	v_cvt_f32_f16_e32 v5, v5
	s_waitcnt lgkmcnt(0)
	v_add_f32_e32 v55, v1, v8
	v_add_f32_e32 v1, v6, v5
	v_div_scale_f32 v4, null, v55, v55, v7
	v_div_scale_f32 v6, null, v55, v55, v1
	v_div_scale_f32 v11, vcc_lo, v7, v55, v7
	v_rcp_f32_e32 v8, v4
	v_rcp_f32_e32 v9, v6
	v_div_scale_f32 v12, s0, v1, v55, v1
	v_fma_f32 v5, -v4, v8, 1.0
	v_fma_f32 v10, -v6, v9, 1.0
	v_fmac_f32_e32 v8, v5, v8
	v_fmac_f32_e32 v9, v10, v9
	v_mul_f32_e32 v10, v11, v8
	v_mul_f32_e32 v13, v12, v9
	v_fma_f32 v5, -v4, v10, v11
	v_fma_f32 v14, -v6, v13, v12
	v_fmac_f32_e32 v10, v5, v8
	v_fmac_f32_e32 v13, v14, v9
	v_mov_b32_e32 v5, 0
	v_fma_f32 v4, -v4, v10, v11
	v_fma_f32 v6, -v6, v13, v12
	v_div_fmas_f32 v8, v4, v8, v10
	v_lshl_or_b32 v4, s2, 8, v132
	s_mov_b32 vcc_lo, s0
	v_div_fmas_f32 v6, v6, v9, v13
	v_div_fixup_f32 v8, v8, v55, v7
	v_lshlrev_b64 v[4:5], 2, v[4:5]
	v_div_fixup_f32 v6, v6, v55, v1
	v_cndmask_b32_e64 v7, v7, v8, s1
	v_add_co_u32 v4, vcc_lo, s24, v4
	v_add_co_ci_u32_e64 v5, null, s25, v5, vcc_lo
	v_cndmask_b32_e64 v1, v1, v6, s1
	global_store_dword v[4:5], v7, off
	global_store_dword v[4:5], v1, off offset:512
.LBB28_45:
	v_mov_b32_e32 v125, v3
	v_mov_b32_e32 v124, v2
.LBB28_46:
	v_or_b32_e32 v0, s35, v0
	v_cmp_gt_u32_e32 vcc_lo, 2, v132
	s_waitcnt lgkmcnt(0)
	s_cmp_lg_u32 s3, 1
	s_cselect_b32 s1, -1, 0
	v_cmp_gt_i32_e64 s0, s36, v0
	s_and_b32 s1, s1, vcc_lo
	s_and_b32 s0, s1, s0
	s_and_saveexec_b32 s1, s0
	s_cbranch_execz .LBB28_48
; %bb.47:
	v_mad_u64_u32 v[0:1], null, s33, s36, v[0:1]
	v_cmp_eq_u32_e32 vcc_lo, 1, v132
	v_cndmask_b32_e32 v2, v124, v125, vcc_lo
	v_mad_u64_u32 v[0:1], null, v0, s37, s[38:39]
	v_cndmask_b32_e32 v3, v54, v55, vcc_lo
	v_mad_u64_u32 v[0:1], null, s3, v0, s[34:35]
	v_mov_b32_e32 v1, 0
	v_lshlrev_b64 v[0:1], 3, v[0:1]
	v_add_co_u32 v0, vcc_lo, s26, v0
	v_add_co_ci_u32_e64 v1, null, s27, v1, vcc_lo
	global_store_dwordx2 v[0:1], v[2:3], off
.LBB28_48:
	s_endpgm
	.section	.rodata,"a",@progbits
	.p2align	6, 0x0
	.amdhsa_kernel _ZL18flash_attn_ext_vecILi256ELi2EL9ggml_type2ELS0_8ELb0EEvPKcS2_S2_S2_S2_PKiPfP15HIP_vector_typeIfLj2EEffffjfiS6_IjLj3EEiiiiiiiiiiiliiliiiiil
		.amdhsa_group_segment_fixed_size 6656
		.amdhsa_private_segment_fixed_size 0
		.amdhsa_kernarg_size 464
		.amdhsa_user_sgpr_count 8
		.amdhsa_user_sgpr_private_segment_buffer 1
		.amdhsa_user_sgpr_dispatch_ptr 1
		.amdhsa_user_sgpr_queue_ptr 0
		.amdhsa_user_sgpr_kernarg_segment_ptr 1
		.amdhsa_user_sgpr_dispatch_id 0
		.amdhsa_user_sgpr_flat_scratch_init 0
		.amdhsa_user_sgpr_private_segment_size 0
		.amdhsa_wavefront_size32 1
		.amdhsa_uses_dynamic_stack 0
		.amdhsa_system_sgpr_private_segment_wavefront_offset 0
		.amdhsa_system_sgpr_workgroup_id_x 1
		.amdhsa_system_sgpr_workgroup_id_y 1
		.amdhsa_system_sgpr_workgroup_id_z 1
		.amdhsa_system_sgpr_workgroup_info 0
		.amdhsa_system_vgpr_workitem_id 2
		.amdhsa_next_free_vgpr 239
		.amdhsa_next_free_sgpr 52
		.amdhsa_reserve_vcc 1
		.amdhsa_reserve_flat_scratch 0
		.amdhsa_float_round_mode_32 0
		.amdhsa_float_round_mode_16_64 0
		.amdhsa_float_denorm_mode_32 3
		.amdhsa_float_denorm_mode_16_64 3
		.amdhsa_dx10_clamp 1
		.amdhsa_ieee_mode 1
		.amdhsa_fp16_overflow 0
		.amdhsa_workgroup_processor_mode 1
		.amdhsa_memory_ordered 1
		.amdhsa_forward_progress 1
		.amdhsa_shared_vgpr_count 0
		.amdhsa_exception_fp_ieee_invalid_op 0
		.amdhsa_exception_fp_denorm_src 0
		.amdhsa_exception_fp_ieee_div_zero 0
		.amdhsa_exception_fp_ieee_overflow 0
		.amdhsa_exception_fp_ieee_underflow 0
		.amdhsa_exception_fp_ieee_inexact 0
		.amdhsa_exception_int_div_zero 0
	.end_amdhsa_kernel
	.section	.text._ZL18flash_attn_ext_vecILi256ELi2EL9ggml_type2ELS0_8ELb0EEvPKcS2_S2_S2_S2_PKiPfP15HIP_vector_typeIfLj2EEffffjfiS6_IjLj3EEiiiiiiiiiiiliiliiiiil,"axG",@progbits,_ZL18flash_attn_ext_vecILi256ELi2EL9ggml_type2ELS0_8ELb0EEvPKcS2_S2_S2_S2_PKiPfP15HIP_vector_typeIfLj2EEffffjfiS6_IjLj3EEiiiiiiiiiiiliiliiiiil,comdat
.Lfunc_end28:
	.size	_ZL18flash_attn_ext_vecILi256ELi2EL9ggml_type2ELS0_8ELb0EEvPKcS2_S2_S2_S2_PKiPfP15HIP_vector_typeIfLj2EEffffjfiS6_IjLj3EEiiiiiiiiiiiliiliiiiil, .Lfunc_end28-_ZL18flash_attn_ext_vecILi256ELi2EL9ggml_type2ELS0_8ELb0EEvPKcS2_S2_S2_S2_PKiPfP15HIP_vector_typeIfLj2EEffffjfiS6_IjLj3EEiiiiiiiiiiiliiliiiiil
                                        ; -- End function
	.set _ZL18flash_attn_ext_vecILi256ELi2EL9ggml_type2ELS0_8ELb0EEvPKcS2_S2_S2_S2_PKiPfP15HIP_vector_typeIfLj2EEffffjfiS6_IjLj3EEiiiiiiiiiiiliiliiiiil.num_vgpr, 239
	.set _ZL18flash_attn_ext_vecILi256ELi2EL9ggml_type2ELS0_8ELb0EEvPKcS2_S2_S2_S2_PKiPfP15HIP_vector_typeIfLj2EEffffjfiS6_IjLj3EEiiiiiiiiiiiliiliiiiil.num_agpr, 0
	.set _ZL18flash_attn_ext_vecILi256ELi2EL9ggml_type2ELS0_8ELb0EEvPKcS2_S2_S2_S2_PKiPfP15HIP_vector_typeIfLj2EEffffjfiS6_IjLj3EEiiiiiiiiiiiliiliiiiil.numbered_sgpr, 52
	.set _ZL18flash_attn_ext_vecILi256ELi2EL9ggml_type2ELS0_8ELb0EEvPKcS2_S2_S2_S2_PKiPfP15HIP_vector_typeIfLj2EEffffjfiS6_IjLj3EEiiiiiiiiiiiliiliiiiil.num_named_barrier, 0
	.set _ZL18flash_attn_ext_vecILi256ELi2EL9ggml_type2ELS0_8ELb0EEvPKcS2_S2_S2_S2_PKiPfP15HIP_vector_typeIfLj2EEffffjfiS6_IjLj3EEiiiiiiiiiiiliiliiiiil.private_seg_size, 0
	.set _ZL18flash_attn_ext_vecILi256ELi2EL9ggml_type2ELS0_8ELb0EEvPKcS2_S2_S2_S2_PKiPfP15HIP_vector_typeIfLj2EEffffjfiS6_IjLj3EEiiiiiiiiiiiliiliiiiil.uses_vcc, 1
	.set _ZL18flash_attn_ext_vecILi256ELi2EL9ggml_type2ELS0_8ELb0EEvPKcS2_S2_S2_S2_PKiPfP15HIP_vector_typeIfLj2EEffffjfiS6_IjLj3EEiiiiiiiiiiiliiliiiiil.uses_flat_scratch, 0
	.set _ZL18flash_attn_ext_vecILi256ELi2EL9ggml_type2ELS0_8ELb0EEvPKcS2_S2_S2_S2_PKiPfP15HIP_vector_typeIfLj2EEffffjfiS6_IjLj3EEiiiiiiiiiiiliiliiiiil.has_dyn_sized_stack, 0
	.set _ZL18flash_attn_ext_vecILi256ELi2EL9ggml_type2ELS0_8ELb0EEvPKcS2_S2_S2_S2_PKiPfP15HIP_vector_typeIfLj2EEffffjfiS6_IjLj3EEiiiiiiiiiiiliiliiiiil.has_recursion, 0
	.set _ZL18flash_attn_ext_vecILi256ELi2EL9ggml_type2ELS0_8ELb0EEvPKcS2_S2_S2_S2_PKiPfP15HIP_vector_typeIfLj2EEffffjfiS6_IjLj3EEiiiiiiiiiiiliiliiiiil.has_indirect_call, 0
	.section	.AMDGPU.csdata,"",@progbits
; Kernel info:
; codeLenInByte = 26388
; TotalNumSgprs: 54
; NumVgprs: 239
; ScratchSize: 0
; MemoryBound: 0
; FloatMode: 240
; IeeeMode: 1
; LDSByteSize: 6656 bytes/workgroup (compile time only)
; SGPRBlocks: 0
; VGPRBlocks: 29
; NumSGPRsForWavesPerEU: 54
; NumVGPRsForWavesPerEU: 239
; Occupancy: 4
; WaveLimiterHint : 0
; COMPUTE_PGM_RSRC2:SCRATCH_EN: 0
; COMPUTE_PGM_RSRC2:USER_SGPR: 8
; COMPUTE_PGM_RSRC2:TRAP_HANDLER: 0
; COMPUTE_PGM_RSRC2:TGID_X_EN: 1
; COMPUTE_PGM_RSRC2:TGID_Y_EN: 1
; COMPUTE_PGM_RSRC2:TGID_Z_EN: 1
; COMPUTE_PGM_RSRC2:TIDIG_COMP_CNT: 2
	.section	.text._ZL33flash_attn_stream_k_fixup_uniformILi256ELi2ELi1EEvPfPK15HIP_vector_typeIfLj2EEiiiiiiS1_IjLj3EES5_S5_,"axG",@progbits,_ZL33flash_attn_stream_k_fixup_uniformILi256ELi2ELi1EEvPfPK15HIP_vector_typeIfLj2EEiiiiiiS1_IjLj3EES5_S5_,comdat
	.globl	_ZL33flash_attn_stream_k_fixup_uniformILi256ELi2ELi1EEvPfPK15HIP_vector_typeIfLj2EEiiiiiiS1_IjLj3EES5_S5_ ; -- Begin function _ZL33flash_attn_stream_k_fixup_uniformILi256ELi2ELi1EEvPfPK15HIP_vector_typeIfLj2EEiiiiiiS1_IjLj3EES5_S5_
	.p2align	8
	.type	_ZL33flash_attn_stream_k_fixup_uniformILi256ELi2ELi1EEvPfPK15HIP_vector_typeIfLj2EEiiiiiiS1_IjLj3EES5_S5_,@function
_ZL33flash_attn_stream_k_fixup_uniformILi256ELi2ELi1EEvPfPK15HIP_vector_typeIfLj2EEiiiiiiS1_IjLj3EES5_S5_: ; @_ZL33flash_attn_stream_k_fixup_uniformILi256ELi2ELi1EEvPfPK15HIP_vector_typeIfLj2EEiiiiiiS1_IjLj3EES5_S5_
; %bb.0:
	s_clause 0x2
	s_load_dwordx8 s[12:19], s[4:5], 0x1c
	s_load_dwordx4 s[20:23], s[4:5], 0x3c
	s_load_dwordx2 s[10:11], s[4:5], 0x10
	s_waitcnt lgkmcnt(0)
	s_mul_hi_u32 s0, s15, s6
	s_add_i32 s0, s6, s0
	s_lshr_b32 s0, s0, s16
	s_mul_i32 s1, s0, s17
	s_sub_i32 s2, s6, s1
	s_mul_hi_u32 s1, s2, s18
	s_add_i32 s1, s2, s1
	s_lshr_b32 s1, s1, s19
	s_mul_i32 s3, s1, s20
	s_sub_i32 s2, s2, s3
	;; [unrolled: 5-line block ×3, first 2 shown]
	s_lshl_b32 s2, s15, 1
	s_add_i32 s2, s2, s7
	s_cmp_lt_i32 s2, s10
	s_cselect_b32 s2, -1, 0
	s_add_i32 s3, s9, s8
	s_cmp_lt_i32 s3, s13
	s_cselect_b32 s3, -1, 0
	s_and_b32 s2, s2, s3
	s_andn2_b32 vcc_lo, exec_lo, s2
	s_cbranch_vccnz .LBB29_6
; %bb.1:
	s_mul_i32 s0, s0, s10
	s_mul_i32 s10, s1, s13
	s_add_i32 s0, s0, s7
	s_mul_i32 s0, s0, s11
	s_add_i32 s13, s0, s8
	s_load_dwordx4 s[0:3], s[4:5], 0x0
	s_add_i32 s4, s13, s10
	s_mul_i32 s5, s11, s15
	s_add_i32 s4, s4, s9
	s_lshl_b32 s5, s5, 9
	s_lshl_b32 s4, s4, 8
	s_add_i32 s8, s7, s8
	s_add_i32 s5, s5, s4
	s_mul_i32 s4, s14, s6
	v_or_b32_e32 v1, s5, v0
	s_add_i32 s9, s4, s14
	v_ashrrev_i32_e32 v2, 31, v1
	v_lshlrev_b64 v[1:2], 2, v[1:2]
	s_waitcnt lgkmcnt(0)
	v_add_co_u32 v1, vcc_lo, s0, v1
	v_add_co_ci_u32_e64 v2, null, s1, v2, vcc_lo
	s_lshl_b32 s0, s9, 1
	s_add_i32 s0, s8, s0
	global_load_dword v5, v[1:2], off
	s_add_i32 s0, s0, -2
	s_ashr_i32 s1, s0, 31
	s_lshl_b64 s[0:1], s[0:1], 3
	s_add_u32 s0, s2, s0
	s_addc_u32 s1, s3, s1
	s_add_i32 s5, s9, -2
	s_load_dword s10, s[0:1], 0x4
	s_cmp_lt_i32 s5, s4
	s_cbranch_scc1 .LBB29_4
; %bb.2:
	s_lshl_b32 s16, s12, 3
	s_load_dword s11, s[0:1], 0x0
	s_ashr_i32 s17, s16, 31
	s_waitcnt lgkmcnt(0)
	v_mov_b32_e32 v6, s10
	s_lshl_b64 s[0:1], s[16:17], 2
	s_add_u32 s5, s2, s0
	s_addc_u32 s7, s3, s1
	s_add_i32 s6, s6, 1
	s_lshl_b32 s1, s8, 8
	s_mul_i32 s0, s14, s6
	s_lshl_b32 s6, s0, 9
	s_lshl_b32 s0, s0, 1
	s_add_i32 s1, s1, s6
	s_add_i32 s0, s8, s0
	v_or_b32_e32 v0, s1, v0
	s_lshl_b32 s1, s12, 1
	s_add_i32 s6, s9, -1
	s_add_i32 s0, s0, s1
	v_add_nc_u32_e32 v3, 0xfffffc00, v0
	v_mov_b32_e32 v0, s11
	s_add_i32 s0, s0, -4
.LBB29_3:                               ; =>This Inner Loop Header: Depth=1
	v_ashrrev_i32_e32 v4, 31, v3
	s_ashr_i32 s1, s0, 31
	s_lshl_b64 s[8:9], s[0:1], 3
	s_add_u32 s8, s2, s8
	v_lshlrev_b64 v[7:8], 2, v[3:4]
	s_addc_u32 s9, s3, s9
	v_add_nc_u32_e32 v3, 0xfffffe00, v3
	s_add_i32 s6, s6, -1
	s_add_i32 s0, s0, -2
	s_cmp_le_i32 s6, s4
	v_add_co_u32 v7, vcc_lo, s5, v7
	v_add_co_ci_u32_e64 v8, null, s7, v8, vcc_lo
	s_load_dwordx2 s[8:9], s[8:9], 0x0
	global_load_dword v4, v[7:8], off
	v_max_f32_e32 v7, v0, v0
	s_waitcnt lgkmcnt(0)
	v_max_f32_e64 v8, s8, s8
	v_max_f32_e32 v7, v7, v8
	v_sub_f32_e32 v8, s8, v7
	v_sub_f32_e32 v0, v0, v7
	v_mul_f32_e32 v9, 0x3fb8aa3b, v8
	v_mul_f32_e32 v12, 0x3fb8aa3b, v0
	v_cmp_ngt_f32_e32 vcc_lo, 0xc2ce8ed0, v8
	v_fma_f32 v10, 0x3fb8aa3b, v8, -v9
	v_rndne_f32_e32 v11, v9
	v_fma_f32 v13, 0x3fb8aa3b, v0, -v12
	v_rndne_f32_e32 v14, v12
	v_fmac_f32_e32 v10, 0x32a5705f, v8
	v_sub_f32_e32 v9, v9, v11
	v_fmac_f32_e32 v13, 0x32a5705f, v0
	v_cvt_i32_f32_e32 v11, v11
	v_add_f32_e32 v9, v9, v10
	v_sub_f32_e32 v10, v12, v14
	v_exp_f32_e32 v9, v9
	v_add_f32_e32 v10, v10, v13
	v_exp_f32_e32 v10, v10
	v_ldexp_f32 v9, v9, v11
	v_cvt_i32_f32_e32 v11, v14
	v_cndmask_b32_e32 v9, 0, v9, vcc_lo
	v_cmp_nlt_f32_e32 vcc_lo, 0x42b17218, v8
	v_ldexp_f32 v10, v10, v11
	v_mov_b32_e32 v11, v6
	v_cndmask_b32_e32 v9, 0x7f800000, v9, vcc_lo
	v_cmp_ngt_f32_e32 vcc_lo, 0xc2ce8ed0, v0
	v_cndmask_b32_e32 v10, 0, v10, vcc_lo
	v_cmp_le_f32_e32 vcc_lo, 0xc1a00000, v8
	v_cndmask_b32_e32 v8, 0, v9, vcc_lo
	v_cmp_nlt_f32_e32 vcc_lo, 0x42b17218, v0
	s_waitcnt vmcnt(1)
	v_mov_b32_e32 v9, v5
	v_cndmask_b32_e32 v5, 0x7f800000, v10, vcc_lo
	v_mul_f32_e32 v10, s9, v8
	v_cmp_le_f32_e32 vcc_lo, 0xc1a00000, v0
	v_mov_b32_e32 v0, v7
	v_mov_b32_e32 v6, v10
	v_cndmask_b32_e32 v12, 0, v5, vcc_lo
	v_fmac_f32_e32 v6, v11, v12
	s_waitcnt vmcnt(0)
	v_mul_f32_e32 v5, v4, v8
	v_fmac_f32_e32 v5, v9, v12
	s_cbranch_scc0 .LBB29_3
	s_branch .LBB29_5
.LBB29_4:
	s_waitcnt lgkmcnt(0)
	v_mov_b32_e32 v6, s10
.LBB29_5:
	s_waitcnt vmcnt(0)
	v_div_scale_f32 v0, null, v6, v6, v5
	v_rcp_f32_e32 v3, v0
	v_fma_f32 v4, -v0, v3, 1.0
	v_fmac_f32_e32 v3, v4, v3
	v_div_scale_f32 v4, vcc_lo, v5, v6, v5
	v_mul_f32_e32 v7, v4, v3
	v_fma_f32 v8, -v0, v7, v4
	v_fmac_f32_e32 v7, v8, v3
	v_fma_f32 v0, -v0, v7, v4
	v_div_fmas_f32 v0, v0, v3, v7
	v_div_fixup_f32 v0, v0, v6, v5
	global_store_dword v[1:2], v0, off
.LBB29_6:
	s_endpgm
	.section	.rodata,"a",@progbits
	.p2align	6, 0x0
	.amdhsa_kernel _ZL33flash_attn_stream_k_fixup_uniformILi256ELi2ELi1EEvPfPK15HIP_vector_typeIfLj2EEiiiiiiS1_IjLj3EES5_S5_
		.amdhsa_group_segment_fixed_size 0
		.amdhsa_private_segment_fixed_size 0
		.amdhsa_kernarg_size 76
		.amdhsa_user_sgpr_count 6
		.amdhsa_user_sgpr_private_segment_buffer 1
		.amdhsa_user_sgpr_dispatch_ptr 0
		.amdhsa_user_sgpr_queue_ptr 0
		.amdhsa_user_sgpr_kernarg_segment_ptr 1
		.amdhsa_user_sgpr_dispatch_id 0
		.amdhsa_user_sgpr_flat_scratch_init 0
		.amdhsa_user_sgpr_private_segment_size 0
		.amdhsa_wavefront_size32 1
		.amdhsa_uses_dynamic_stack 0
		.amdhsa_system_sgpr_private_segment_wavefront_offset 0
		.amdhsa_system_sgpr_workgroup_id_x 1
		.amdhsa_system_sgpr_workgroup_id_y 1
		.amdhsa_system_sgpr_workgroup_id_z 1
		.amdhsa_system_sgpr_workgroup_info 0
		.amdhsa_system_vgpr_workitem_id 0
		.amdhsa_next_free_vgpr 15
		.amdhsa_next_free_sgpr 24
		.amdhsa_reserve_vcc 1
		.amdhsa_reserve_flat_scratch 0
		.amdhsa_float_round_mode_32 0
		.amdhsa_float_round_mode_16_64 0
		.amdhsa_float_denorm_mode_32 3
		.amdhsa_float_denorm_mode_16_64 3
		.amdhsa_dx10_clamp 1
		.amdhsa_ieee_mode 1
		.amdhsa_fp16_overflow 0
		.amdhsa_workgroup_processor_mode 1
		.amdhsa_memory_ordered 1
		.amdhsa_forward_progress 1
		.amdhsa_shared_vgpr_count 0
		.amdhsa_exception_fp_ieee_invalid_op 0
		.amdhsa_exception_fp_denorm_src 0
		.amdhsa_exception_fp_ieee_div_zero 0
		.amdhsa_exception_fp_ieee_overflow 0
		.amdhsa_exception_fp_ieee_underflow 0
		.amdhsa_exception_fp_ieee_inexact 0
		.amdhsa_exception_int_div_zero 0
	.end_amdhsa_kernel
	.section	.text._ZL33flash_attn_stream_k_fixup_uniformILi256ELi2ELi1EEvPfPK15HIP_vector_typeIfLj2EEiiiiiiS1_IjLj3EES5_S5_,"axG",@progbits,_ZL33flash_attn_stream_k_fixup_uniformILi256ELi2ELi1EEvPfPK15HIP_vector_typeIfLj2EEiiiiiiS1_IjLj3EES5_S5_,comdat
.Lfunc_end29:
	.size	_ZL33flash_attn_stream_k_fixup_uniformILi256ELi2ELi1EEvPfPK15HIP_vector_typeIfLj2EEiiiiiiS1_IjLj3EES5_S5_, .Lfunc_end29-_ZL33flash_attn_stream_k_fixup_uniformILi256ELi2ELi1EEvPfPK15HIP_vector_typeIfLj2EEiiiiiiS1_IjLj3EES5_S5_
                                        ; -- End function
	.set _ZL33flash_attn_stream_k_fixup_uniformILi256ELi2ELi1EEvPfPK15HIP_vector_typeIfLj2EEiiiiiiS1_IjLj3EES5_S5_.num_vgpr, 15
	.set _ZL33flash_attn_stream_k_fixup_uniformILi256ELi2ELi1EEvPfPK15HIP_vector_typeIfLj2EEiiiiiiS1_IjLj3EES5_S5_.num_agpr, 0
	.set _ZL33flash_attn_stream_k_fixup_uniformILi256ELi2ELi1EEvPfPK15HIP_vector_typeIfLj2EEiiiiiiS1_IjLj3EES5_S5_.numbered_sgpr, 24
	.set _ZL33flash_attn_stream_k_fixup_uniformILi256ELi2ELi1EEvPfPK15HIP_vector_typeIfLj2EEiiiiiiS1_IjLj3EES5_S5_.num_named_barrier, 0
	.set _ZL33flash_attn_stream_k_fixup_uniformILi256ELi2ELi1EEvPfPK15HIP_vector_typeIfLj2EEiiiiiiS1_IjLj3EES5_S5_.private_seg_size, 0
	.set _ZL33flash_attn_stream_k_fixup_uniformILi256ELi2ELi1EEvPfPK15HIP_vector_typeIfLj2EEiiiiiiS1_IjLj3EES5_S5_.uses_vcc, 1
	.set _ZL33flash_attn_stream_k_fixup_uniformILi256ELi2ELi1EEvPfPK15HIP_vector_typeIfLj2EEiiiiiiS1_IjLj3EES5_S5_.uses_flat_scratch, 0
	.set _ZL33flash_attn_stream_k_fixup_uniformILi256ELi2ELi1EEvPfPK15HIP_vector_typeIfLj2EEiiiiiiS1_IjLj3EES5_S5_.has_dyn_sized_stack, 0
	.set _ZL33flash_attn_stream_k_fixup_uniformILi256ELi2ELi1EEvPfPK15HIP_vector_typeIfLj2EEiiiiiiS1_IjLj3EES5_S5_.has_recursion, 0
	.set _ZL33flash_attn_stream_k_fixup_uniformILi256ELi2ELi1EEvPfPK15HIP_vector_typeIfLj2EEiiiiiiS1_IjLj3EES5_S5_.has_indirect_call, 0
	.section	.AMDGPU.csdata,"",@progbits
; Kernel info:
; codeLenInByte = 828
; TotalNumSgprs: 26
; NumVgprs: 15
; ScratchSize: 0
; MemoryBound: 0
; FloatMode: 240
; IeeeMode: 1
; LDSByteSize: 0 bytes/workgroup (compile time only)
; SGPRBlocks: 0
; VGPRBlocks: 1
; NumSGPRsForWavesPerEU: 26
; NumVGPRsForWavesPerEU: 15
; Occupancy: 16
; WaveLimiterHint : 0
; COMPUTE_PGM_RSRC2:SCRATCH_EN: 0
; COMPUTE_PGM_RSRC2:USER_SGPR: 6
; COMPUTE_PGM_RSRC2:TRAP_HANDLER: 0
; COMPUTE_PGM_RSRC2:TGID_X_EN: 1
; COMPUTE_PGM_RSRC2:TGID_Y_EN: 1
; COMPUTE_PGM_RSRC2:TGID_Z_EN: 1
; COMPUTE_PGM_RSRC2:TIDIG_COMP_CNT: 0
	.section	.text._ZL33flash_attn_stream_k_fixup_generalILi256ELi2ELi1EEvPfPK15HIP_vector_typeIfLj2EEiiiiS1_IjLj3EES5_S5_S5_,"axG",@progbits,_ZL33flash_attn_stream_k_fixup_generalILi256ELi2ELi1EEvPfPK15HIP_vector_typeIfLj2EEiiiiS1_IjLj3EES5_S5_S5_,comdat
	.globl	_ZL33flash_attn_stream_k_fixup_generalILi256ELi2ELi1EEvPfPK15HIP_vector_typeIfLj2EEiiiiS1_IjLj3EES5_S5_S5_ ; -- Begin function _ZL33flash_attn_stream_k_fixup_generalILi256ELi2ELi1EEvPfPK15HIP_vector_typeIfLj2EEiiiiS1_IjLj3EES5_S5_S5_
	.p2align	8
	.type	_ZL33flash_attn_stream_k_fixup_generalILi256ELi2ELi1EEvPfPK15HIP_vector_typeIfLj2EEiiiiS1_IjLj3EES5_S5_S5_,@function
_ZL33flash_attn_stream_k_fixup_generalILi256ELi2ELi1EEvPfPK15HIP_vector_typeIfLj2EEiiiiS1_IjLj3EES5_S5_S5_: ; @_ZL33flash_attn_stream_k_fixup_generalILi256ELi2ELi1EEvPfPK15HIP_vector_typeIfLj2EEiiiiS1_IjLj3EES5_S5_S5_
; %bb.0:
	s_clause 0x1
	s_load_dwordx4 s[0:3], s[4:5], 0x10
	s_load_dword s9, s[4:5], 0x50
	s_mov_b32 s16, 0
	s_waitcnt lgkmcnt(0)
	s_mul_hi_i32 s17, s3, s6
	s_mul_i32 s18, s3, s6
	s_cmp_lg_u64 s[16:17], 0
	s_cbranch_scc0 .LBB30_21
; %bb.1:
	s_add_u32 s10, s9, 0
	s_addc_u32 s11, 0, 0
	s_xor_b64 s[10:11], s[10:11], 0
	v_cvt_f32_u32_e32 v1, s10
	v_cvt_f32_u32_e32 v2, s11
	s_sub_u32 s14, 0, s10
	s_subb_u32 s15, 0, s11
	v_fmamk_f32 v1, v2, 0x4f800000, v1
	v_rcp_f32_e32 v1, v1
	v_mul_f32_e32 v1, 0x5f7ffffc, v1
	v_mul_f32_e32 v2, 0x2f800000, v1
	v_trunc_f32_e32 v2, v2
	v_fmamk_f32 v1, v2, 0xcf800000, v1
	v_cvt_u32_f32_e32 v2, v2
	v_cvt_u32_f32_e32 v1, v1
	v_readfirstlane_b32 s12, v2
	v_readfirstlane_b32 s13, v1
	s_mul_i32 s19, s14, s12
	s_mul_hi_u32 s21, s14, s13
	s_mul_i32 s20, s15, s13
	s_add_i32 s19, s21, s19
	s_mul_i32 s22, s14, s13
	s_add_i32 s19, s19, s20
	s_mul_hi_u32 s21, s13, s22
	s_mul_i32 s24, s13, s19
	s_mul_hi_u32 s23, s12, s22
	s_mul_i32 s20, s12, s22
	s_mul_hi_u32 s22, s13, s19
	s_add_u32 s21, s21, s24
	s_addc_u32 s22, 0, s22
	s_mul_hi_u32 s25, s12, s19
	s_add_u32 s20, s21, s20
	s_mul_i32 s19, s12, s19
	s_addc_u32 s20, s22, s23
	s_addc_u32 s21, s25, 0
	s_add_u32 s19, s20, s19
	s_addc_u32 s20, 0, s21
	s_add_u32 s13, s13, s19
	s_cselect_b32 s19, -1, 0
	s_mul_hi_u32 s21, s14, s13
	s_cmp_lg_u32 s19, 0
	s_mul_i32 s19, s14, s13
	s_addc_u32 s12, s12, s20
	s_mul_i32 s15, s15, s13
	s_mul_i32 s14, s14, s12
	s_mul_hi_u32 s20, s13, s19
	s_add_i32 s14, s21, s14
	s_mul_hi_u32 s21, s12, s19
	s_add_i32 s14, s14, s15
	s_mul_i32 s15, s12, s19
	s_mul_i32 s23, s13, s14
	s_mul_hi_u32 s22, s13, s14
	s_add_u32 s20, s20, s23
	s_addc_u32 s22, 0, s22
	s_mul_hi_u32 s19, s12, s14
	s_add_u32 s15, s20, s15
	s_mul_i32 s14, s12, s14
	s_addc_u32 s15, s22, s21
	s_addc_u32 s19, s19, 0
	s_add_u32 s14, s15, s14
	s_addc_u32 s15, 0, s19
	s_add_u32 s19, s13, s14
	s_cselect_b32 s13, -1, 0
	s_cmp_lg_u32 s13, 0
	s_addc_u32 s20, s12, s15
	s_ashr_i32 s12, s17, 31
	s_add_u32 s14, s18, s12
	s_mov_b32 s13, s12
	s_addc_u32 s15, s17, s12
	s_xor_b64 s[14:15], s[14:15], s[12:13]
	s_mul_i32 s21, s14, s20
	s_mul_hi_u32 s22, s14, s19
	s_mul_hi_u32 s17, s14, s20
	;; [unrolled: 1-line block ×3, first 2 shown]
	s_mul_i32 s19, s15, s19
	s_add_u32 s21, s22, s21
	s_addc_u32 s17, 0, s17
	s_mul_hi_u32 s23, s15, s20
	s_add_u32 s19, s21, s19
	s_mul_i32 s20, s15, s20
	s_addc_u32 s17, s17, s24
	s_addc_u32 s19, s23, 0
	s_add_u32 s17, s17, s20
	s_addc_u32 s19, 0, s19
	s_mul_hi_u32 s20, s10, s17
	s_mul_i32 s21, s10, s19
	s_mul_i32 s22, s11, s17
	s_add_i32 s20, s20, s21
	s_mul_i32 s21, s10, s17
	s_add_i32 s20, s20, s22
	s_sub_i32 s22, s15, s20
	s_sub_u32 s14, s14, s21
	s_cselect_b32 s21, -1, 0
	s_cmp_lg_u32 s21, 0
	s_subb_u32 s22, s22, s11
	s_sub_u32 s23, s14, s10
	s_cselect_b32 s24, -1, 0
	s_cmp_lg_u32 s24, 0
	s_subb_u32 s22, s22, 0
	s_cmp_ge_u32 s22, s11
	s_cselect_b32 s24, -1, 0
	s_cmp_ge_u32 s23, s10
	s_cselect_b32 s23, -1, 0
	s_cmp_eq_u32 s22, s11
	s_cselect_b32 s22, s23, s24
	s_add_u32 s23, s17, 1
	s_addc_u32 s24, s19, 0
	s_add_u32 s25, s17, 2
	s_addc_u32 s26, s19, 0
	s_cmp_lg_u32 s22, 0
	s_cselect_b32 s22, s25, s23
	s_cselect_b32 s23, s26, s24
	s_cmp_lg_u32 s21, 0
	s_subb_u32 s15, s15, s20
	s_cmp_ge_u32 s15, s11
	s_cselect_b32 s20, -1, 0
	s_cmp_ge_u32 s14, s10
	s_cselect_b32 s10, -1, 0
	s_cmp_eq_u32 s15, s11
	s_cselect_b32 s10, s10, s20
	s_cmp_lg_u32 s10, 0
	s_cselect_b32 s11, s23, s19
	s_cselect_b32 s10, s22, s17
	s_xor_b64 s[12:13], s[12:13], 0
	s_xor_b64 s[10:11], s[10:11], s[12:13]
	s_sub_u32 s10, s10, s12
	s_load_dwordx4 s[12:15], s[4:5], 0x44
	s_andn2_b32 vcc_lo, exec_lo, s16
	s_cbranch_vccnz .LBB30_3
.LBB30_2:
	v_cvt_f32_u32_e32 v1, s9
	s_sub_i32 s11, 0, s9
	v_rcp_iflag_f32_e32 v1, v1
	v_mul_f32_e32 v1, 0x4f7ffffe, v1
	v_cvt_u32_f32_e32 v1, v1
	v_readfirstlane_b32 s10, v1
	s_mul_i32 s11, s11, s10
	s_mul_hi_u32 s11, s10, s11
	s_add_i32 s10, s10, s11
	s_mul_hi_u32 s10, s18, s10
	s_mul_i32 s11, s10, s9
	s_waitcnt lgkmcnt(0)
	s_add_i32 s15, s10, 1
	s_sub_i32 s11, s18, s11
	s_sub_i32 s16, s11, s9
	s_cmp_ge_u32 s11, s9
	s_cselect_b32 s10, s15, s10
	s_cselect_b32 s11, s16, s11
	s_add_i32 s15, s10, 1
	s_cmp_ge_u32 s11, s9
	s_cselect_b32 s10, s15, s10
.LBB30_3:
	s_add_i32 s11, s6, 1
	s_mov_b32 s16, 0
	s_mul_hi_i32 s17, s3, s11
	s_mul_i32 s11, s3, s11
	s_cmp_lg_u64 s[16:17], 0
	s_cbranch_scc0 .LBB30_22
; %bb.4:
	s_add_u32 s18, s9, 0
	s_addc_u32 s19, 0, 0
	s_xor_b64 s[18:19], s[18:19], 0
	v_cvt_f32_u32_e32 v1, s18
	v_cvt_f32_u32_e32 v2, s19
	s_sub_u32 s21, 0, s18
	s_subb_u32 s22, 0, s19
	v_fmamk_f32 v1, v2, 0x4f800000, v1
	v_rcp_f32_e32 v1, v1
	v_mul_f32_e32 v1, 0x5f7ffffc, v1
	v_mul_f32_e32 v2, 0x2f800000, v1
	v_trunc_f32_e32 v2, v2
	v_fmamk_f32 v1, v2, 0xcf800000, v1
	v_cvt_u32_f32_e32 v2, v2
	v_cvt_u32_f32_e32 v1, v1
	s_waitcnt lgkmcnt(0)
	v_readfirstlane_b32 s15, v2
	v_readfirstlane_b32 s20, v1
	s_mul_i32 s23, s21, s15
	s_mul_hi_u32 s25, s21, s20
	s_mul_i32 s24, s22, s20
	s_add_i32 s23, s25, s23
	s_mul_i32 s26, s21, s20
	s_add_i32 s23, s23, s24
	s_mul_hi_u32 s25, s20, s26
	s_mul_i32 s28, s20, s23
	s_mul_hi_u32 s27, s15, s26
	s_mul_i32 s24, s15, s26
	s_mul_hi_u32 s26, s20, s23
	s_add_u32 s25, s25, s28
	s_addc_u32 s26, 0, s26
	s_mul_hi_u32 s29, s15, s23
	s_add_u32 s24, s25, s24
	s_mul_i32 s23, s15, s23
	s_addc_u32 s24, s26, s27
	s_addc_u32 s25, s29, 0
	s_add_u32 s23, s24, s23
	s_addc_u32 s24, 0, s25
	s_add_u32 s20, s20, s23
	s_cselect_b32 s23, -1, 0
	s_mul_hi_u32 s25, s21, s20
	s_cmp_lg_u32 s23, 0
	s_mul_i32 s23, s21, s20
	s_addc_u32 s15, s15, s24
	s_mul_i32 s22, s22, s20
	s_mul_i32 s21, s21, s15
	s_mul_hi_u32 s24, s20, s23
	s_add_i32 s21, s25, s21
	s_mul_hi_u32 s25, s15, s23
	s_add_i32 s21, s21, s22
	s_mul_i32 s22, s15, s23
	s_mul_i32 s27, s20, s21
	s_mul_hi_u32 s26, s20, s21
	s_add_u32 s24, s24, s27
	s_addc_u32 s26, 0, s26
	s_mul_hi_u32 s23, s15, s21
	s_add_u32 s22, s24, s22
	s_mul_i32 s21, s15, s21
	s_addc_u32 s22, s26, s25
	s_addc_u32 s23, s23, 0
	s_add_u32 s21, s22, s21
	s_addc_u32 s22, 0, s23
	s_add_u32 s24, s20, s21
	s_cselect_b32 s20, -1, 0
	s_cmp_lg_u32 s20, 0
	s_addc_u32 s15, s15, s22
	s_ashr_i32 s20, s17, 31
	s_add_u32 s22, s11, s20
	s_mov_b32 s21, s20
	s_addc_u32 s23, s17, s20
	s_xor_b64 s[22:23], s[22:23], s[20:21]
	s_mul_i32 s25, s22, s15
	s_mul_hi_u32 s26, s22, s24
	s_mul_hi_u32 s17, s22, s15
	;; [unrolled: 1-line block ×3, first 2 shown]
	s_mul_i32 s24, s23, s24
	s_add_u32 s25, s26, s25
	s_addc_u32 s17, 0, s17
	s_mul_hi_u32 s27, s23, s15
	s_add_u32 s24, s25, s24
	s_mul_i32 s15, s23, s15
	s_addc_u32 s17, s17, s28
	s_addc_u32 s24, s27, 0
	s_add_u32 s15, s17, s15
	s_addc_u32 s17, 0, s24
	s_mul_hi_u32 s24, s18, s15
	s_mul_i32 s25, s18, s17
	s_mul_i32 s26, s19, s15
	s_add_i32 s24, s24, s25
	s_mul_i32 s25, s18, s15
	s_add_i32 s24, s24, s26
	s_sub_i32 s26, s23, s24
	s_sub_u32 s22, s22, s25
	s_cselect_b32 s25, -1, 0
	s_cmp_lg_u32 s25, 0
	s_subb_u32 s26, s26, s19
	s_sub_u32 s27, s22, s18
	s_cselect_b32 s28, -1, 0
	s_cmp_lg_u32 s28, 0
	s_subb_u32 s26, s26, 0
	s_cmp_ge_u32 s26, s19
	s_cselect_b32 s28, -1, 0
	s_cmp_ge_u32 s27, s18
	s_cselect_b32 s27, -1, 0
	s_cmp_eq_u32 s26, s19
	s_cselect_b32 s26, s27, s28
	s_add_u32 s27, s15, 1
	s_addc_u32 s28, s17, 0
	s_add_u32 s29, s15, 2
	s_addc_u32 s30, s17, 0
	s_cmp_lg_u32 s26, 0
	s_cselect_b32 s26, s29, s27
	s_cselect_b32 s27, s30, s28
	s_cmp_lg_u32 s25, 0
	s_subb_u32 s23, s23, s24
	s_cmp_ge_u32 s23, s19
	s_cselect_b32 s24, -1, 0
	s_cmp_ge_u32 s22, s18
	s_cselect_b32 s18, -1, 0
	s_cmp_eq_u32 s23, s19
	s_cselect_b32 s18, s18, s24
	s_cmp_lg_u32 s18, 0
	s_cselect_b32 s19, s27, s17
	s_cselect_b32 s18, s26, s15
	s_xor_b64 s[20:21], s[20:21], 0
	s_xor_b64 s[18:19], s[18:19], s[20:21]
	s_sub_u32 s18, s18, s20
	s_andn2_b32 vcc_lo, exec_lo, s16
	s_cbranch_vccnz .LBB30_6
.LBB30_5:
	v_cvt_f32_u32_e32 v1, s9
	s_sub_i32 s16, 0, s9
	v_rcp_iflag_f32_e32 v1, v1
	v_mul_f32_e32 v1, 0x4f7ffffe, v1
	v_cvt_u32_f32_e32 v1, v1
	s_waitcnt lgkmcnt(0)
	v_readfirstlane_b32 s15, v1
	s_mul_i32 s16, s16, s15
	s_mul_hi_u32 s16, s15, s16
	s_add_i32 s15, s15, s16
	s_mul_hi_u32 s15, s11, s15
	s_mul_i32 s16, s15, s9
	s_sub_i32 s11, s11, s16
	s_add_i32 s16, s15, 1
	s_sub_i32 s17, s11, s9
	s_cmp_ge_u32 s11, s9
	s_cselect_b32 s15, s16, s15
	s_cselect_b32 s11, s17, s11
	s_add_i32 s16, s15, 1
	s_cmp_ge_u32 s11, s9
	s_cselect_b32 s18, s16, s15
.LBB30_6:
	s_cmp_eq_u32 s10, s18
	s_waitcnt lgkmcnt(0)
	s_mul_hi_u32 s11, s10, s12
	s_cselect_b32 s15, -1, 0
	s_add_i32 s11, s11, s10
	s_lshr_b32 s11, s11, s13
	s_mul_i32 s16, s11, s14
	s_cmp_eq_u32 s16, s10
	s_mul_hi_u32 s16, s18, s12
	s_cselect_b32 s17, -1, 0
	s_add_i32 s16, s16, s18
	s_lshr_b32 s16, s16, s13
	s_cmp_eq_u32 s11, s16
	s_mul_i32 s16, s16, s14
	s_cselect_b32 s19, -1, 0
	s_cmp_lg_u32 s16, s18
	s_cselect_b32 s16, -1, 0
	s_or_b32 s15, s15, s17
	s_and_b32 s16, s19, s16
	s_or_b32 s15, s15, s16
	s_and_b32 vcc_lo, exec_lo, s15
	s_cbranch_vccnz .LBB30_24
; %bb.7:
	s_load_dwordx8 s[20:27], s[4:5], 0x20
	s_waitcnt lgkmcnt(0)
	s_mul_hi_u32 s15, s10, s20
	s_add_i32 s15, s15, s10
	s_lshr_b32 s20, s15, s21
	s_load_dword s15, s[4:5], 0x40
	s_mul_i32 s16, s20, s22
	s_sub_i32 s16, s10, s16
	s_mul_hi_u32 s17, s16, s23
	s_add_i32 s17, s16, s17
	s_lshr_b32 s22, s17, s24
	s_mul_i32 s17, s22, s25
	s_sub_i32 s16, s16, s17
	s_mul_hi_u32 s17, s16, s26
	s_add_i32 s17, s16, s17
	s_lshr_b32 s23, s17, s27
	s_waitcnt lgkmcnt(0)
	s_mul_i32 s15, s23, s15
	s_sub_i32 s15, s16, s15
	s_mul_hi_u32 s16, s15, s12
	s_add_i32 s15, s15, s16
	s_lshr_b32 s24, s15, s13
	s_lshl_b32 s15, s24, 1
	s_add_i32 s15, s15, s7
	s_cmp_lt_i32 s15, s0
	s_cselect_b32 s15, -1, 0
	s_add_i32 s16, s23, s8
	s_cmp_lt_i32 s16, s2
	s_cselect_b32 s16, -1, 0
	s_and_b32 s15, s15, s16
	s_andn2_b32 vcc_lo, exec_lo, s15
	s_cbranch_vccnz .LBB30_24
; %bb.8:
	s_load_dwordx4 s[16:19], s[4:5], 0x0
	s_mov_b32 s4, 0
	s_lshl_b32 s26, s9, 3
	s_mov_b32 s27, s4
	s_add_i32 s15, s7, s8
	s_lshl_b64 s[26:27], s[26:27], 2
	s_mul_i32 s0, s20, s0
	s_mul_i32 s22, s22, s2
	v_cvt_f32_u32_e32 v4, s9
	v_rcp_iflag_f32_e32 v4, v4
	s_waitcnt lgkmcnt(0)
	s_add_u32 s20, s18, s26
	s_addc_u32 s21, s19, s27
	s_add_i32 s0, s0, s7
	v_mul_f32_e32 v4, 0x4f7ffffe, v4
	s_mul_i32 s0, s0, s1
	s_mul_i32 s1, s1, s24
	s_add_i32 s0, s0, s8
	s_lshl_b32 s1, s1, 9
	s_add_i32 s0, s0, s22
	v_cvt_u32_f32_e32 v4, v4
	s_add_i32 s0, s0, s23
	s_lshl_b32 s0, s0, 8
	s_add_i32 s1, s1, s0
	s_lshl_b32 s0, s6, 1
	v_or_b32_e32 v1, s1, v0
	s_add_i32 s0, s0, s15
	v_lshl_or_b32 v0, s15, 8, v0
	s_ashr_i32 s1, s0, 31
	v_ashrrev_i32_e32 v2, 31, v1
	s_lshl_b64 s[0:1], s[0:1], 3
	s_add_u32 s0, s18, s0
	s_addc_u32 s1, s19, s1
	v_lshlrev_b64 v[1:2], 2, v[1:2]
	s_load_dwordx2 s[0:1], s[0:1], 0x0
	s_add_i32 s8, s6, -1
	s_sub_i32 s2, 0, s9
	v_add_co_u32 v1, vcc_lo, s16, v1
	v_add_co_ci_u32_e64 v2, null, s17, v2, vcc_lo
	global_load_dword v3, v[1:2], off
	s_waitcnt lgkmcnt(0)
	v_mov_b32_e32 v5, s1
	v_mov_b32_e32 v6, s0
.LBB30_9:                               ; =>This Inner Loop Header: Depth=1
	s_mul_hi_i32 s5, s8, s3
	s_mul_i32 s6, s8, s3
	s_cmp_lg_u64 s[4:5], 0
	s_mov_b32 s7, -1
                                        ; implicit-def: $sgpr0_sgpr1
	s_cbranch_scc0 .LBB30_11
; %bb.10:                               ;   in Loop: Header=BB30_9 Depth=1
	s_add_u32 s0, s9, 0
	s_addc_u32 s1, 0, 0
	s_xor_b64 s[0:1], s[0:1], 0
	v_cvt_f32_u32_e32 v7, s0
	v_cvt_f32_u32_e32 v8, s1
	s_sub_u32 s17, 0, s0
	s_subb_u32 s22, 0, s1
	v_fmac_f32_e32 v7, 0x4f800000, v8
	v_rcp_f32_e32 v7, v7
	v_mul_f32_e32 v7, 0x5f7ffffc, v7
	v_mul_f32_e32 v8, 0x2f800000, v7
	v_trunc_f32_e32 v8, v8
	v_fmac_f32_e32 v7, 0xcf800000, v8
	v_cvt_u32_f32_e32 v8, v8
	v_cvt_u32_f32_e32 v7, v7
	v_readfirstlane_b32 s7, v8
	v_readfirstlane_b32 s16, v7
	s_mul_i32 s23, s17, s7
	s_mul_hi_u32 s25, s17, s16
	s_mul_i32 s24, s22, s16
	s_add_i32 s23, s25, s23
	s_mul_i32 s26, s17, s16
	s_add_i32 s23, s23, s24
	s_mul_hi_u32 s25, s16, s26
	s_mul_i32 s28, s16, s23
	s_mul_hi_u32 s27, s7, s26
	s_mul_i32 s24, s7, s26
	s_mul_hi_u32 s26, s16, s23
	s_add_u32 s25, s25, s28
	s_addc_u32 s26, 0, s26
	s_mul_hi_u32 s29, s7, s23
	s_add_u32 s24, s25, s24
	s_mul_i32 s23, s7, s23
	s_addc_u32 s24, s26, s27
	s_addc_u32 s25, s29, 0
	s_add_u32 s23, s24, s23
	s_addc_u32 s24, 0, s25
	s_add_u32 s16, s16, s23
	s_cselect_b32 s23, -1, 0
	s_mul_hi_u32 s25, s17, s16
	s_cmp_lg_u32 s23, 0
	s_mul_i32 s23, s17, s16
	s_addc_u32 s7, s7, s24
	s_mul_i32 s22, s22, s16
	s_mul_i32 s17, s17, s7
	s_mul_hi_u32 s24, s16, s23
	s_add_i32 s17, s25, s17
	s_mul_hi_u32 s25, s7, s23
	s_add_i32 s17, s17, s22
	s_mul_i32 s22, s7, s23
	s_mul_i32 s27, s16, s17
	s_mul_hi_u32 s26, s16, s17
	s_add_u32 s24, s24, s27
	s_addc_u32 s26, 0, s26
	s_mul_hi_u32 s23, s7, s17
	s_add_u32 s22, s24, s22
	s_mul_i32 s17, s7, s17
	s_addc_u32 s22, s26, s25
	s_addc_u32 s23, s23, 0
	s_add_u32 s17, s22, s17
	s_addc_u32 s22, 0, s23
	s_add_u32 s24, s16, s17
	s_cselect_b32 s16, -1, 0
	s_cmp_lg_u32 s16, 0
	s_addc_u32 s7, s7, s22
	s_ashr_i32 s16, s5, 31
	s_add_u32 s22, s6, s16
	s_mov_b32 s17, s16
	s_addc_u32 s23, s5, s16
	s_xor_b64 s[22:23], s[22:23], s[16:17]
	s_mul_i32 s25, s22, s7
	s_mul_hi_u32 s26, s22, s24
	s_mul_hi_u32 s5, s22, s7
	;; [unrolled: 1-line block ×3, first 2 shown]
	s_mul_i32 s24, s23, s24
	s_add_u32 s25, s26, s25
	s_addc_u32 s5, 0, s5
	s_mul_hi_u32 s27, s23, s7
	s_add_u32 s24, s25, s24
	s_mul_i32 s7, s23, s7
	s_addc_u32 s5, s5, s28
	s_addc_u32 s24, s27, 0
	s_add_u32 s5, s5, s7
	s_addc_u32 s7, 0, s24
	s_mul_hi_u32 s24, s0, s5
	s_mul_i32 s25, s0, s7
	s_mul_i32 s26, s1, s5
	s_add_i32 s24, s24, s25
	s_mul_i32 s25, s0, s5
	s_add_i32 s24, s24, s26
	s_sub_i32 s26, s23, s24
	s_sub_u32 s22, s22, s25
	s_cselect_b32 s25, -1, 0
	s_cmp_lg_u32 s25, 0
	s_subb_u32 s26, s26, s1
	s_sub_u32 s27, s22, s0
	s_cselect_b32 s28, -1, 0
	s_cmp_lg_u32 s28, 0
	s_subb_u32 s26, s26, 0
	s_cmp_ge_u32 s26, s1
	s_cselect_b32 s28, -1, 0
	s_cmp_ge_u32 s27, s0
	s_cselect_b32 s27, -1, 0
	s_cmp_eq_u32 s26, s1
	s_cselect_b32 s26, s27, s28
	s_add_u32 s27, s5, 1
	s_addc_u32 s28, s7, 0
	s_add_u32 s29, s5, 2
	s_addc_u32 s30, s7, 0
	s_cmp_lg_u32 s26, 0
	s_cselect_b32 s26, s29, s27
	s_cselect_b32 s27, s30, s28
	s_cmp_lg_u32 s25, 0
	s_subb_u32 s23, s23, s24
	s_cmp_ge_u32 s23, s1
	s_cselect_b32 s24, -1, 0
	s_cmp_ge_u32 s22, s0
	s_cselect_b32 s0, -1, 0
	s_cmp_eq_u32 s23, s1
	s_cselect_b32 s0, s0, s24
	s_cmp_lg_u32 s0, 0
	s_cselect_b32 s1, s27, s7
	s_cselect_b32 s0, s26, s5
	s_xor_b64 s[16:17], s[16:17], 0
	s_mov_b32 s7, 0
	s_xor_b64 s[0:1], s[0:1], s[16:17]
	s_sub_u32 s0, s0, s16
.LBB30_11:                              ;   in Loop: Header=BB30_9 Depth=1
	s_andn2_b32 vcc_lo, exec_lo, s7
	s_cbranch_vccnz .LBB30_13
; %bb.12:                               ;   in Loop: Header=BB30_9 Depth=1
	v_readfirstlane_b32 s0, v4
	s_mul_i32 s1, s2, s0
	s_mul_hi_u32 s1, s0, s1
	s_add_i32 s0, s0, s1
	s_mul_hi_u32 s0, s6, s0
	s_mul_i32 s1, s0, s9
	s_add_i32 s5, s0, 1
	s_sub_i32 s1, s6, s1
	s_sub_i32 s6, s1, s9
	s_cmp_ge_u32 s1, s9
	s_cselect_b32 s0, s5, s0
	s_cselect_b32 s1, s6, s1
	s_add_i32 s5, s0, 1
	s_cmp_ge_u32 s1, s9
	s_cselect_b32 s0, s5, s0
.LBB30_13:                              ;   in Loop: Header=BB30_9 Depth=1
	s_cmp_lg_u32 s10, s0
	s_mov_b32 s6, -1
                                        ; implicit-def: $sgpr5
                                        ; implicit-def: $vgpr8
                                        ; implicit-def: $vgpr7
                                        ; implicit-def: $vgpr9
                                        ; implicit-def: $sgpr1
                                        ; implicit-def: $sgpr16
	s_cbranch_scc0 .LBB30_18
; %bb.14:                               ;   in Loop: Header=BB30_9 Depth=1
	s_add_i32 s1, s8, s9
	s_mov_b32 s7, s4
	s_lshl_b32 s1, s1, 1
	s_mov_b32 s16, s10
	s_add_i32 s6, s1, s15
	s_mul_hi_u32 s1, s0, s12
	s_lshl_b64 s[6:7], s[6:7], 3
	s_add_u32 s6, s18, s6
	s_addc_u32 s7, s19, s7
	s_add_i32 s1, s1, s0
	s_lshr_b32 s1, s1, s13
	s_mul_i32 s5, s1, s14
	s_cmp_eq_u32 s5, s0
	s_cselect_b32 s5, -1, 0
	s_cmp_lt_u32 s1, s11
	s_cselect_b32 s1, -1, 0
	s_or_b32 s1, s1, s5
	s_mov_b32 s5, -1
	s_and_b32 vcc_lo, exec_lo, s1
	s_mov_b32 s1, s8
	s_cbranch_vccnz .LBB30_16
; %bb.15:                               ;   in Loop: Header=BB30_9 Depth=1
	s_add_i32 s1, s8, -1
	s_mov_b32 s5, 0
	s_mov_b32 s16, s0
.LBB30_16:                              ;   in Loop: Header=BB30_9 Depth=1
	v_lshl_add_u32 v7, s8, 9, v0
	s_load_dwordx2 s[6:7], s[6:7], 0x0
	v_ashrrev_i32_e32 v8, 31, v7
	v_lshlrev_b64 v[7:8], 2, v[7:8]
	v_add_co_u32 v7, vcc_lo, s20, v7
	v_add_co_ci_u32_e64 v8, null, s21, v8, vcc_lo
	s_waitcnt lgkmcnt(0)
	v_max_f32_e64 v9, s6, s6
	global_load_dword v8, v[7:8], off
	v_max_f32_e32 v7, v6, v6
	v_max_f32_e32 v7, v7, v9
	v_sub_f32_e32 v9, s6, v7
	v_sub_f32_e32 v10, v6, v7
	v_mul_f32_e32 v11, 0x3fb8aa3b, v9
	v_mul_f32_e32 v12, 0x3fb8aa3b, v10
	v_cmp_ngt_f32_e32 vcc_lo, 0xc2ce8ed0, v9
	v_fma_f32 v13, 0x3fb8aa3b, v9, -v11
	v_rndne_f32_e32 v14, v11
	v_fma_f32 v15, 0x3fb8aa3b, v10, -v12
	v_rndne_f32_e32 v16, v12
	v_fmac_f32_e32 v13, 0x32a5705f, v9
	v_sub_f32_e32 v11, v11, v14
	v_fmac_f32_e32 v15, 0x32a5705f, v10
	v_sub_f32_e32 v12, v12, v16
	v_add_f32_e32 v11, v11, v13
	v_cvt_i32_f32_e32 v13, v14
	v_add_f32_e32 v12, v12, v15
	v_cvt_i32_f32_e32 v14, v16
	v_exp_f32_e32 v11, v11
	v_exp_f32_e32 v12, v12
	v_ldexp_f32 v11, v11, v13
	v_ldexp_f32 v12, v12, v14
	v_cndmask_b32_e32 v11, 0, v11, vcc_lo
	v_cmp_ngt_f32_e32 vcc_lo, 0xc2ce8ed0, v10
	v_cndmask_b32_e32 v12, 0, v12, vcc_lo
	v_cmp_nlt_f32_e32 vcc_lo, 0x42b17218, v9
	v_cndmask_b32_e32 v11, 0x7f800000, v11, vcc_lo
	v_cmp_nlt_f32_e32 vcc_lo, 0x42b17218, v10
	v_cndmask_b32_e32 v12, 0x7f800000, v12, vcc_lo
	v_cmp_le_f32_e32 vcc_lo, 0xc1a00000, v9
	v_cndmask_b32_e32 v9, 0, v11, vcc_lo
	v_cmp_le_f32_e32 vcc_lo, 0xc1a00000, v10
	v_cndmask_b32_e32 v10, 0, v12, vcc_lo
	s_waitcnt vmcnt(0)
	v_mul_f32_e32 v8, v8, v9
	v_mul_f32_e32 v9, s7, v9
	v_fmac_f32_e32 v8, v3, v10
	v_fmac_f32_e32 v9, v5, v10
	s_cbranch_execz .LBB30_19
.LBB30_17:                              ;   in Loop: Header=BB30_9 Depth=1
	s_andn2_b32 vcc_lo, exec_lo, s5
	s_cbranch_vccnz .LBB30_20
	s_branch .LBB30_23
.LBB30_18:                              ;   in Loop: Header=BB30_9 Depth=1
	s_andn2_b32 vcc_lo, exec_lo, s6
	s_cbranch_vccnz .LBB30_17
.LBB30_19:                              ;   in Loop: Header=BB30_9 Depth=1
	v_mov_b32_e32 v9, v5
	v_mov_b32_e32 v7, v6
	s_waitcnt vmcnt(0)
	v_mov_b32_e32 v8, v3
	s_add_i32 s1, s8, -1
	s_mov_b32 s16, s10
	s_cbranch_execz .LBB30_23
.LBB30_20:                              ;   in Loop: Header=BB30_9 Depth=1
	v_mov_b32_e32 v5, v9
	v_mov_b32_e32 v6, v7
	s_waitcnt vmcnt(0)
	v_mov_b32_e32 v3, v8
	s_mov_b32 s10, s16
	s_mov_b32 s8, s1
	s_branch .LBB30_9
.LBB30_21:
                                        ; implicit-def: $sgpr10_sgpr11
	s_load_dwordx4 s[12:15], s[4:5], 0x44
	s_branch .LBB30_2
.LBB30_22:
                                        ; implicit-def: $sgpr18_sgpr19
	s_branch .LBB30_5
.LBB30_23:
	v_div_scale_f32 v0, null, v9, v9, v8
	s_waitcnt vmcnt(0)
	v_rcp_f32_e32 v3, v0
	v_fma_f32 v4, -v0, v3, 1.0
	v_fmac_f32_e32 v3, v4, v3
	v_div_scale_f32 v4, vcc_lo, v8, v9, v8
	v_mul_f32_e32 v5, v4, v3
	v_fma_f32 v6, -v0, v5, v4
	v_fmac_f32_e32 v5, v6, v3
	v_fma_f32 v0, -v0, v5, v4
	v_div_fmas_f32 v0, v0, v3, v5
	v_div_fixup_f32 v0, v0, v9, v8
	global_store_dword v[1:2], v0, off
.LBB30_24:
	s_endpgm
	.section	.rodata,"a",@progbits
	.p2align	6, 0x0
	.amdhsa_kernel _ZL33flash_attn_stream_k_fixup_generalILi256ELi2ELi1EEvPfPK15HIP_vector_typeIfLj2EEiiiiS1_IjLj3EES5_S5_S5_
		.amdhsa_group_segment_fixed_size 0
		.amdhsa_private_segment_fixed_size 0
		.amdhsa_kernarg_size 336
		.amdhsa_user_sgpr_count 6
		.amdhsa_user_sgpr_private_segment_buffer 1
		.amdhsa_user_sgpr_dispatch_ptr 0
		.amdhsa_user_sgpr_queue_ptr 0
		.amdhsa_user_sgpr_kernarg_segment_ptr 1
		.amdhsa_user_sgpr_dispatch_id 0
		.amdhsa_user_sgpr_flat_scratch_init 0
		.amdhsa_user_sgpr_private_segment_size 0
		.amdhsa_wavefront_size32 1
		.amdhsa_uses_dynamic_stack 0
		.amdhsa_system_sgpr_private_segment_wavefront_offset 0
		.amdhsa_system_sgpr_workgroup_id_x 1
		.amdhsa_system_sgpr_workgroup_id_y 1
		.amdhsa_system_sgpr_workgroup_id_z 1
		.amdhsa_system_sgpr_workgroup_info 0
		.amdhsa_system_vgpr_workitem_id 0
		.amdhsa_next_free_vgpr 17
		.amdhsa_next_free_sgpr 31
		.amdhsa_reserve_vcc 1
		.amdhsa_reserve_flat_scratch 0
		.amdhsa_float_round_mode_32 0
		.amdhsa_float_round_mode_16_64 0
		.amdhsa_float_denorm_mode_32 3
		.amdhsa_float_denorm_mode_16_64 3
		.amdhsa_dx10_clamp 1
		.amdhsa_ieee_mode 1
		.amdhsa_fp16_overflow 0
		.amdhsa_workgroup_processor_mode 1
		.amdhsa_memory_ordered 1
		.amdhsa_forward_progress 1
		.amdhsa_shared_vgpr_count 0
		.amdhsa_exception_fp_ieee_invalid_op 0
		.amdhsa_exception_fp_denorm_src 0
		.amdhsa_exception_fp_ieee_div_zero 0
		.amdhsa_exception_fp_ieee_overflow 0
		.amdhsa_exception_fp_ieee_underflow 0
		.amdhsa_exception_fp_ieee_inexact 0
		.amdhsa_exception_int_div_zero 0
	.end_amdhsa_kernel
	.section	.text._ZL33flash_attn_stream_k_fixup_generalILi256ELi2ELi1EEvPfPK15HIP_vector_typeIfLj2EEiiiiS1_IjLj3EES5_S5_S5_,"axG",@progbits,_ZL33flash_attn_stream_k_fixup_generalILi256ELi2ELi1EEvPfPK15HIP_vector_typeIfLj2EEiiiiS1_IjLj3EES5_S5_S5_,comdat
.Lfunc_end30:
	.size	_ZL33flash_attn_stream_k_fixup_generalILi256ELi2ELi1EEvPfPK15HIP_vector_typeIfLj2EEiiiiS1_IjLj3EES5_S5_S5_, .Lfunc_end30-_ZL33flash_attn_stream_k_fixup_generalILi256ELi2ELi1EEvPfPK15HIP_vector_typeIfLj2EEiiiiS1_IjLj3EES5_S5_S5_
                                        ; -- End function
	.set _ZL33flash_attn_stream_k_fixup_generalILi256ELi2ELi1EEvPfPK15HIP_vector_typeIfLj2EEiiiiS1_IjLj3EES5_S5_S5_.num_vgpr, 17
	.set _ZL33flash_attn_stream_k_fixup_generalILi256ELi2ELi1EEvPfPK15HIP_vector_typeIfLj2EEiiiiS1_IjLj3EES5_S5_S5_.num_agpr, 0
	.set _ZL33flash_attn_stream_k_fixup_generalILi256ELi2ELi1EEvPfPK15HIP_vector_typeIfLj2EEiiiiS1_IjLj3EES5_S5_S5_.numbered_sgpr, 31
	.set _ZL33flash_attn_stream_k_fixup_generalILi256ELi2ELi1EEvPfPK15HIP_vector_typeIfLj2EEiiiiS1_IjLj3EES5_S5_S5_.num_named_barrier, 0
	.set _ZL33flash_attn_stream_k_fixup_generalILi256ELi2ELi1EEvPfPK15HIP_vector_typeIfLj2EEiiiiS1_IjLj3EES5_S5_S5_.private_seg_size, 0
	.set _ZL33flash_attn_stream_k_fixup_generalILi256ELi2ELi1EEvPfPK15HIP_vector_typeIfLj2EEiiiiS1_IjLj3EES5_S5_S5_.uses_vcc, 1
	.set _ZL33flash_attn_stream_k_fixup_generalILi256ELi2ELi1EEvPfPK15HIP_vector_typeIfLj2EEiiiiS1_IjLj3EES5_S5_S5_.uses_flat_scratch, 0
	.set _ZL33flash_attn_stream_k_fixup_generalILi256ELi2ELi1EEvPfPK15HIP_vector_typeIfLj2EEiiiiS1_IjLj3EES5_S5_S5_.has_dyn_sized_stack, 0
	.set _ZL33flash_attn_stream_k_fixup_generalILi256ELi2ELi1EEvPfPK15HIP_vector_typeIfLj2EEiiiiS1_IjLj3EES5_S5_S5_.has_recursion, 0
	.set _ZL33flash_attn_stream_k_fixup_generalILi256ELi2ELi1EEvPfPK15HIP_vector_typeIfLj2EEiiiiS1_IjLj3EES5_S5_S5_.has_indirect_call, 0
	.section	.AMDGPU.csdata,"",@progbits
; Kernel info:
; codeLenInByte = 2936
; TotalNumSgprs: 33
; NumVgprs: 17
; ScratchSize: 0
; MemoryBound: 0
; FloatMode: 240
; IeeeMode: 1
; LDSByteSize: 0 bytes/workgroup (compile time only)
; SGPRBlocks: 0
; VGPRBlocks: 2
; NumSGPRsForWavesPerEU: 33
; NumVGPRsForWavesPerEU: 17
; Occupancy: 16
; WaveLimiterHint : 0
; COMPUTE_PGM_RSRC2:SCRATCH_EN: 0
; COMPUTE_PGM_RSRC2:USER_SGPR: 6
; COMPUTE_PGM_RSRC2:TRAP_HANDLER: 0
; COMPUTE_PGM_RSRC2:TGID_X_EN: 1
; COMPUTE_PGM_RSRC2:TGID_Y_EN: 1
; COMPUTE_PGM_RSRC2:TGID_Z_EN: 1
; COMPUTE_PGM_RSRC2:TIDIG_COMP_CNT: 0
	.section	.text._ZL18flash_attn_ext_vecILi256ELi2EL9ggml_type2ELS0_8ELb1EEvPKcS2_S2_S2_S2_PKiPfP15HIP_vector_typeIfLj2EEffffjfiS6_IjLj3EEiiiiiiiiiiiliiliiiiil,"axG",@progbits,_ZL18flash_attn_ext_vecILi256ELi2EL9ggml_type2ELS0_8ELb1EEvPKcS2_S2_S2_S2_PKiPfP15HIP_vector_typeIfLj2EEffffjfiS6_IjLj3EEiiiiiiiiiiiliiliiiiil,comdat
	.globl	_ZL18flash_attn_ext_vecILi256ELi2EL9ggml_type2ELS0_8ELb1EEvPKcS2_S2_S2_S2_PKiPfP15HIP_vector_typeIfLj2EEffffjfiS6_IjLj3EEiiiiiiiiiiiliiliiiiil ; -- Begin function _ZL18flash_attn_ext_vecILi256ELi2EL9ggml_type2ELS0_8ELb1EEvPKcS2_S2_S2_S2_PKiPfP15HIP_vector_typeIfLj2EEffffjfiS6_IjLj3EEiiiiiiiiiiiliiliiiiil
	.p2align	8
	.type	_ZL18flash_attn_ext_vecILi256ELi2EL9ggml_type2ELS0_8ELb1EEvPKcS2_S2_S2_S2_PKiPfP15HIP_vector_typeIfLj2EEffffjfiS6_IjLj3EEiiiiiiiiiiiliiliiiiil,@function
_ZL18flash_attn_ext_vecILi256ELi2EL9ggml_type2ELS0_8ELb1EEvPKcS2_S2_S2_S2_PKiPfP15HIP_vector_typeIfLj2EEffffjfiS6_IjLj3EEiiiiiiiiiiiliiliiiiil: ; @_ZL18flash_attn_ext_vecILi256ELi2EL9ggml_type2ELS0_8ELb1EEvPKcS2_S2_S2_S2_PKiPfP15HIP_vector_typeIfLj2EEffffjfiS6_IjLj3EEiiiiiiiiiiiliiliiiiil
; %bb.0:
	s_clause 0x2
	s_load_dwordx2 s[36:37], s[6:7], 0x64
	s_load_dwordx2 s[42:43], s[6:7], 0x80
	;; [unrolled: 1-line block ×3, first 2 shown]
	s_mov_b32 s34, s9
	s_clause 0x1
	s_load_dwordx4 s[28:31], s[6:7], 0x40
	s_load_dwordx2 s[40:41], s[6:7], 0x50
	v_mov_b32_e32 v133, 1.0
	s_waitcnt lgkmcnt(0)
	v_cvt_f32_u32_e32 v3, s37
	s_sub_i32 s1, 0, s37
	v_rcp_iflag_f32_e32 v3, v3
	v_mul_f32_e32 v3, 0x4f7ffffe, v3
	v_cvt_u32_f32_e32 v3, v3
	v_readfirstlane_b32 s0, v3
	s_mul_i32 s1, s1, s0
	s_mul_hi_u32 s1, s0, s1
	s_add_i32 s0, s0, s1
	s_mul_hi_u32 s0, s10, s0
	s_mul_i32 s1, s0, s37
	s_add_i32 s2, s0, 1
	s_sub_i32 s1, s10, s1
	s_sub_i32 s3, s1, s37
	s_cmp_ge_u32 s1, s37
	s_cselect_b32 s0, s2, s0
	s_cselect_b32 s1, s3, s1
	s_add_i32 s2, s0, 1
	s_cmp_ge_u32 s1, s37
	s_cselect_b32 s33, s2, s0
	s_abs_i32 s0, s43
	s_abs_i32 s9, s37
	v_cvt_f32_u32_e32 v3, s0
	s_sub_i32 s2, 0, s0
	s_xor_b32 s3, s37, s43
	s_ashr_i32 s3, s3, 31
	v_rcp_iflag_f32_e32 v3, v3
	v_mul_f32_e32 v3, 0x4f7ffffe, v3
	v_cvt_u32_f32_e32 v3, v3
	v_readfirstlane_b32 s1, v3
	s_mul_i32 s2, s2, s1
	s_mul_hi_u32 s2, s1, s2
	s_add_i32 s1, s1, s2
	s_mul_i32 s2, s33, s37
	s_mul_hi_u32 s1, s9, s1
	s_sub_i32 s38, s10, s2
	s_mul_i32 s11, s1, s0
	s_sub_i32 s2, s9, s11
	s_add_i32 s9, s1, 1
	s_sub_i32 s10, s2, s0
	s_cmp_ge_u32 s2, s0
	s_cselect_b32 s1, s9, s1
	s_cselect_b32 s2, s10, s2
	s_add_i32 s9, s1, 1
	s_cmp_ge_u32 s2, s0
	s_cselect_b32 s0, s9, s1
	s_abs_i32 s43, s44
	s_xor_b32 s0, s0, s3
	v_cvt_f32_u32_e32 v3, s43
	s_sub_i32 s46, s0, s3
	v_cmp_le_f32_e64 s0, s29, 0
	s_abs_i32 s44, s46
	v_cvt_f32_u32_e32 v4, s44
	v_rcp_iflag_f32_e32 v3, v3
	s_and_b32 vcc_lo, exec_lo, s0
	v_rcp_iflag_f32_e32 v4, v4
	v_mul_f32_e32 v3, 0x4f7ffffe, v3
	v_mul_f32_e32 v4, 0x4f7ffffe, v4
	v_cvt_u32_f32_e32 v3, v3
	v_cvt_u32_f32_e32 v4, v4
	v_readfirstlane_b32 s47, v3
	v_readfirstlane_b32 s48, v4
	s_cbranch_vccnz .LBB31_2
; %bb.1:
	v_sub_co_u32 v4, vcc_lo, s38, s40
	v_mov_b32_e32 v3, s30
	s_add_i32 s0, s38, 1
	v_lshlrev_b32_e32 v4, 1, v4
	v_cndmask_b32_e32 v3, s31, v3, vcc_lo
	v_or_b32_e32 v4, 1, v4
	v_cndmask_b32_e64 v4, v4, s0, vcc_lo
	v_cmp_neq_f32_e32 vcc_lo, 1.0, v3
	s_mov_b32 s0, 0x3e76c4e1
	v_cvt_f32_i32_e32 v4, v4
	v_cndmask_b32_e32 v5, 1.0, v4, vcc_lo
	v_cmp_neq_f32_e32 vcc_lo, 0, v5
	v_cndmask_b32_e32 v6, 1.0, v3, vcc_lo
	v_frexp_mant_f32_e64 v3, |v6|
	v_cmp_eq_f32_e64 s2, 0, v6
	v_cmp_gt_f32_e32 vcc_lo, 0x3f2aaaab, v3
	v_cndmask_b32_e64 v4, 1.0, 2.0, vcc_lo
	v_mul_f32_e32 v3, v3, v4
	v_add_f32_e32 v4, 1.0, v3
	v_add_f32_e32 v8, -1.0, v3
	v_rcp_f32_e32 v7, v4
	v_add_f32_e32 v10, -1.0, v4
	v_sub_f32_e32 v3, v3, v10
	v_mul_f32_e32 v9, v8, v7
	v_mul_f32_e32 v11, v4, v9
	v_fma_f32 v4, v9, v4, -v11
	v_fmac_f32_e32 v4, v9, v3
	v_add_f32_e32 v3, v11, v4
	v_sub_f32_e32 v10, v8, v3
	v_sub_f32_e32 v11, v3, v11
	;; [unrolled: 1-line block ×5, first 2 shown]
	v_add_f32_e32 v3, v4, v3
	v_add_f32_e32 v3, v10, v3
	v_mul_f32_e32 v3, v7, v3
	v_add_f32_e32 v7, v9, v3
	v_sub_f32_e32 v4, v7, v9
	v_mul_f32_e32 v8, v7, v7
	v_sub_f32_e32 v9, v3, v4
	v_fma_f32 v3, v7, v7, -v8
	v_add_f32_e32 v4, v9, v9
	v_fmac_f32_e32 v3, v7, v4
	v_add_f32_e32 v10, v8, v3
	v_fmaak_f32 v4, s0, v10, 0x3e91f4c4
	v_sub_f32_e32 v8, v10, v8
	v_mul_f32_e32 v15, v7, v10
	v_fmaak_f32 v4, v10, v4, 0x3ecccdef
	v_sub_f32_e32 v8, v3, v8
	v_fma_f32 v16, v10, v7, -v15
	v_mul_f32_e32 v11, v10, v4
	v_fmac_f32_e32 v16, v10, v9
	v_ldexp_f32 v9, v9, 1
	v_fma_f32 v12, v10, v4, -v11
	v_fmac_f32_e32 v16, v8, v7
	v_fmac_f32_e32 v12, v8, v4
	v_cvt_f64_f32_e64 v[3:4], |v6|
	v_add_f32_e32 v13, v11, v12
	v_sub_f32_e32 v11, v13, v11
	v_add_f32_e32 v14, 0x3f2aaaaa, v13
	v_sub_f32_e32 v11, v12, v11
	v_add_f32_e32 v12, 0xbf2aaaaa, v14
	v_add_f32_e32 v11, 0x31739010, v11
	v_sub_f32_e32 v12, v13, v12
	v_frexp_exp_i32_f64_e32 v3, v[3:4]
	v_add_f32_e32 v10, v11, v12
	v_add_f32_e32 v11, v15, v16
	v_add_f32_e32 v8, v14, v10
	v_sub_f32_e32 v13, v11, v15
	v_sub_f32_e32 v4, v14, v8
	v_mul_f32_e32 v12, v11, v8
	v_sub_f32_e32 v13, v16, v13
	v_add_f32_e32 v4, v10, v4
	v_fma_f32 v10, v11, v8, -v12
	v_subrev_co_ci_u32_e64 v3, null, 0, v3, vcc_lo
	v_fmac_f32_e32 v10, v11, v4
	v_ldexp_f32 v4, v7, 1
	v_cvt_f32_i32_e32 v3, v3
	v_fmac_f32_e32 v10, v13, v8
	v_add_f32_e32 v7, v12, v10
	v_add_f32_e32 v8, v4, v7
	v_sub_f32_e32 v11, v7, v12
	v_mul_f32_e32 v12, 0x3f317218, v3
	v_sub_f32_e32 v4, v8, v4
	v_sub_f32_e32 v10, v10, v11
	v_fma_f32 v11, 0x3f317218, v3, -v12
	v_sub_f32_e32 v4, v7, v4
	v_add_f32_e32 v7, v9, v10
	v_fmamk_f32 v3, v3, 0xb102e308, v11
	v_add_f32_e32 v4, v7, v4
	v_add_f32_e32 v7, v12, v3
	;; [unrolled: 1-line block ×3, first 2 shown]
	v_sub_f32_e32 v12, v7, v12
	v_add_f32_e32 v10, v7, v9
	v_sub_f32_e32 v8, v9, v8
	v_sub_f32_e32 v3, v3, v12
	;; [unrolled: 1-line block ×6, first 2 shown]
	v_add_f32_e32 v9, v3, v4
	v_sub_f32_e32 v7, v7, v13
	v_add_f32_e32 v7, v8, v7
	v_sub_f32_e32 v8, v9, v3
	;; [unrolled: 2-line block ×3, first 2 shown]
	v_sub_f32_e32 v4, v4, v8
	v_add_f32_e32 v11, v10, v7
	v_sub_f32_e32 v3, v3, v9
	v_sub_f32_e32 v8, v11, v10
	v_add_f32_e32 v3, v4, v3
	v_sub_f32_e32 v4, v7, v8
	v_add_f32_e32 v3, v3, v4
	v_add_f32_e32 v4, v11, v3
	v_sub_f32_e32 v7, v4, v11
	v_mul_f32_e32 v8, v5, v4
	v_sub_f32_e32 v3, v3, v7
	v_fma_f32 v4, v5, v4, -v8
	v_cmp_class_f32_e64 vcc_lo, v8, 0x204
	v_fmac_f32_e32 v4, v5, v3
	v_add_f32_e32 v3, v8, v4
	v_cndmask_b32_e32 v7, v3, v8, vcc_lo
	v_sub_f32_e32 v3, v3, v8
	v_cmp_eq_f32_e32 vcc_lo, 0x42b17218, v7
	v_sub_f32_e32 v3, v4, v3
	v_cndmask_b32_e64 v9, 0, 0x37000000, vcc_lo
	v_cmp_neq_f32_e64 vcc_lo, 0x7f800000, |v7|
	v_sub_f32_e32 v10, v7, v9
	v_cndmask_b32_e32 v3, 0, v3, vcc_lo
	v_trunc_f32_e32 v7, v5
	v_mul_f32_e32 v11, 0x3fb8aa3b, v10
	v_cmp_ngt_f32_e32 vcc_lo, 0xc2ce8ed0, v10
	v_add_f32_e32 v3, v9, v3
	v_fma_f32 v12, 0x3fb8aa3b, v10, -v11
	v_rndne_f32_e32 v13, v11
	v_fmamk_f32 v12, v10, 0x32a5705f, v12
	v_sub_f32_e32 v11, v11, v13
	v_cvt_i32_f32_e32 v8, v13
	v_add_f32_e32 v11, v11, v12
	v_exp_f32_e32 v11, v11
	v_ldexp_f32 v4, v11, v8
	v_mul_f32_e32 v8, 0.5, v5
	v_cndmask_b32_e32 v4, 0, v4, vcc_lo
	v_cmp_nlt_f32_e32 vcc_lo, 0x42b17218, v10
	v_trunc_f32_e32 v11, v8
	v_cndmask_b32_e32 v4, 0x7f800000, v4, vcc_lo
	v_cmp_eq_f32_e32 vcc_lo, v7, v5
	v_cmp_neq_f32_e64 s0, v11, v8
	v_fma_f32 v3, v4, v3, v4
	v_cmp_class_f32_e64 s1, v4, 0x204
	s_and_b32 s0, vcc_lo, s0
	v_cndmask_b32_e64 v7, 1.0, v6, s0
	v_cndmask_b32_e64 v3, v3, v4, s1
	v_cmp_gt_f32_e64 s1, 0, v5
	v_bfi_b32 v3, 0x7fffffff, v3, v7
	s_xor_b32 s1, s1, s2
	v_cndmask_b32_e64 v7, 0, v6, s0
	v_cndmask_b32_e64 v4, 0x7f800000, 0, s1
	v_cmp_class_f32_e64 s0, v6, 0x204
	v_cndmask_b32_e32 v5, 0x7fc00000, v3, vcc_lo
	v_cmp_gt_f32_e32 vcc_lo, 0, v6
	v_bfi_b32 v4, 0x7fffffff, v4, v7
	v_cndmask_b32_e32 v3, v3, v5, vcc_lo
	s_or_b32 vcc_lo, s2, s0
	v_cndmask_b32_e32 v3, v3, v4, vcc_lo
	v_cmp_o_f32_e32 vcc_lo, v6, v6
	v_cndmask_b32_e32 v133, 0x7fc00000, v3, vcc_lo
.LBB31_2:
	s_load_dwordx2 s[0:1], s[4:5], 0x4
	s_load_dwordx16 s[12:27], s[6:7], 0x0
	v_mov_b32_e32 v30, 0
	v_lshlrev_b32_e32 v130, 9, v1
	v_lshlrev_b32_e32 v131, 2, v0
	s_lshl_b32 s35, s8, 1
	s_mov_b32 s5, exec_lo
	s_waitcnt lgkmcnt(0)
	v_mul_u32_u24_e32 v3, s1, v1
	s_lshr_b32 s0, s0, 16
	s_mul_i32 s0, s0, s1
	v_mad_u32_u24 v3, s0, v0, v3
	v_cmp_lt_u32_e64 s0, 1, v1
	v_add_lshl_u32 v34, v3, v2, 5
	v_add_nc_u32_e32 v2, 0xa04, v34
	v_add_nc_u32_e32 v3, 0xa0c, v34
	;; [unrolled: 1-line block ×4, first 2 shown]
	ds_write2_b32 v2, v30, v30 offset1:1
	ds_write2_b32 v3, v30, v30 offset1:1
	;; [unrolled: 1-line block ×3, first 2 shown]
	ds_write2_b32 v5, v30, v30 offset0:128 offset1:135
	v_cmpx_gt_u32_e32 2, v1
	s_cbranch_execz .LBB31_17
; %bb.3:
	v_lshl_add_u32 v4, v0, 3, v130
	v_sub_nc_u32_e32 v3, 0, v131
	v_or_b32_e32 v2, s35, v1
	v_or_b32_e32 v6, v130, v0
	s_mov_b32 s1, exec_lo
	v_add_nc_u32_e32 v7, v4, v3
	v_cmpx_le_i32_e64 s36, v2
	s_xor_b32 s1, exec_lo, s1
	s_cbranch_execz .LBB31_7
; %bb.4:
	v_mov_b32_e32 v2, 0
	v_mad_u32_u24 v3, v0, 3, v6
	s_mov_b32 s2, exec_lo
	ds_write_b32 v7, v2
	ds_write_b32 v3, v2 offset:128
	v_cmpx_gt_u32_e32 8, v0
; %bb.5:
	v_mov_b32_e32 v3, v2
	ds_write_b64 v4, v[2:3] offset:256
; %bb.6:
	s_or_b32 exec_lo, exec_lo, s2
                                        ; implicit-def: $vgpr7
                                        ; implicit-def: $vgpr6
.LBB31_7:
	s_andn2_saveexec_b32 s1, s1
	s_cbranch_execz .LBB31_17
; %bb.8:
	s_load_dwordx4 s[52:55], s[6:7], 0x70
	v_lshlrev_b32_e32 v3, 2, v131
	s_mov_b32 s4, exec_lo
	s_waitcnt lgkmcnt(0)
	v_mul_lo_u32 v2, s52, v1
	s_mul_i32 s1, s33, s54
	s_mul_i32 s2, s52, s35
	;; [unrolled: 1-line block ×3, first 2 shown]
	s_add_i32 s1, s1, s2
	s_add_i32 s1, s1, s3
	s_ashr_i32 s2, s1, 31
	v_ashrrev_i32_e32 v4, 31, v2
	s_add_u32 s1, s12, s1
	s_addc_u32 s2, s13, s2
	v_add_co_u32 v2, vcc_lo, s1, v2
	v_add_co_ci_u32_e64 v4, null, s2, v4, vcc_lo
	v_add_co_u32 v2, vcc_lo, v2, v3
	v_add_co_ci_u32_e64 v3, null, 0, v4, vcc_lo
	v_mbcnt_lo_u32_b32 v4, -1, 0
	global_load_dwordx4 v[16:19], v[2:3], off
	v_xor_b32_e32 v5, 4, v4
	v_xor_b32_e32 v10, 2, v4
	;; [unrolled: 1-line block ×3, first 2 shown]
	v_cmp_gt_i32_e32 vcc_lo, 32, v5
	v_cndmask_b32_e32 v5, v4, v5, vcc_lo
	v_cmp_gt_i32_e32 vcc_lo, 32, v10
	v_lshlrev_b32_e32 v8, 2, v5
	v_cndmask_b32_e32 v10, v4, v10, vcc_lo
	v_cmp_gt_i32_e32 vcc_lo, 32, v12
	v_lshlrev_b32_e32 v10, 2, v10
	v_cndmask_b32_e32 v4, v4, v12, vcc_lo
	s_waitcnt vmcnt(0)
	v_mul_f32_e32 v11, s28, v16
	v_mul_f32_e32 v13, s28, v17
	;; [unrolled: 1-line block ×4, first 2 shown]
	v_max_f32_e64 v9, |v11|, |v13|
	v_max3_f32 v5, v9, |v15|, |v14|
	ds_bpermute_b32 v9, v8, v5
	s_waitcnt lgkmcnt(0)
	v_max_f32_e32 v9, v9, v9
	v_max_f32_e32 v5, v5, v9
	ds_bpermute_b32 v9, v10, v5
	s_waitcnt lgkmcnt(0)
	v_max_f32_e32 v12, v9, v9
	v_lshlrev_b32_e32 v9, 2, v4
	v_max_f32_e32 v4, v5, v12
	v_fma_f32 v12, s28, v16, v13
	ds_bpermute_b32 v5, v9, v4
	v_fmac_f32_e32 v12, s28, v18
	v_fmac_f32_e32 v12, s28, v19
	ds_bpermute_b32 v16, v8, v12
	s_waitcnt lgkmcnt(1)
	v_max_f32_e32 v5, v5, v5
	v_max_f32_e32 v4, v4, v5
	v_div_scale_f32 v17, null, 0x42fe0000, 0x42fe0000, v4
	s_waitcnt lgkmcnt(0)
	v_add_f32_e32 v5, v12, v16
	v_div_scale_f32 v19, vcc_lo, v4, 0x42fe0000, v4
	v_rcp_f32_e32 v18, v17
	ds_bpermute_b32 v16, v10, v5
	v_fma_f32 v12, -v17, v18, 1.0
	v_fmac_f32_e32 v18, v12, v18
	v_mul_f32_e32 v20, v19, v18
	s_waitcnt lgkmcnt(0)
	v_add_f32_e32 v5, v5, v16
	v_fma_f32 v12, -v17, v20, v19
	v_fmac_f32_e32 v20, v12, v18
	ds_bpermute_b32 v12, v9, v5
	v_fma_f32 v16, -v17, v20, v19
	v_div_fmas_f32 v16, v16, v18, v20
	v_div_fixup_f32 v4, v16, 0x42fe0000, v4
	v_mov_b32_e32 v16, 0
	v_cmpx_neq_f32_e32 0, v4
	s_cbranch_execz .LBB31_10
; %bb.9:
	v_div_scale_f32 v16, null, v4, v4, v11
	v_div_scale_f32 v17, null, v4, v4, v13
	;; [unrolled: 1-line block ×3, first 2 shown]
	v_rcp_f32_e32 v18, v16
	v_div_scale_f32 v20, null, v4, v4, v14
	v_rcp_f32_e32 v21, v17
	v_rcp_f32_e32 v22, v19
	v_div_scale_f32 v26, vcc_lo, v11, v4, v11
	v_rcp_f32_e32 v23, v20
	v_fma_f32 v24, -v16, v18, 1.0
	v_fma_f32 v25, -v17, v21, 1.0
	;; [unrolled: 1-line block ×3, first 2 shown]
	v_fmac_f32_e32 v18, v24, v18
	v_div_scale_f32 v24, s1, v13, v4, v13
	v_fma_f32 v28, -v20, v23, 1.0
	v_fmac_f32_e32 v21, v25, v21
	v_fmac_f32_e32 v22, v27, v22
	v_div_scale_f32 v25, s2, v15, v4, v15
	v_fmac_f32_e32 v23, v28, v23
	v_mul_f32_e32 v28, v26, v18
	v_mul_f32_e32 v29, v24, v21
	;; [unrolled: 1-line block ×3, first 2 shown]
	v_div_scale_f32 v27, s3, v14, v4, v14
	v_fma_f32 v33, -v16, v28, v26
	v_fma_f32 v35, -v17, v29, v24
	;; [unrolled: 1-line block ×3, first 2 shown]
	v_mul_f32_e32 v32, v27, v23
	v_fmac_f32_e32 v28, v33, v18
	v_fmac_f32_e32 v29, v35, v21
	;; [unrolled: 1-line block ×3, first 2 shown]
	v_fma_f32 v37, -v20, v32, v27
	v_fma_f32 v16, -v16, v28, v26
	;; [unrolled: 1-line block ×4, first 2 shown]
	v_fmac_f32_e32 v32, v37, v23
	v_div_fmas_f32 v16, v16, v18, v28
	s_mov_b32 vcc_lo, s1
	v_div_fmas_f32 v17, v17, v21, v29
	s_mov_b32 vcc_lo, s2
	v_div_fixup_f32 v11, v16, v4, v11
	v_div_fmas_f32 v18, v19, v22, v31
	v_fma_f32 v19, -v20, v32, v27
	s_mov_b32 vcc_lo, s3
	v_div_fixup_f32 v13, v17, v4, v13
	v_div_fixup_f32 v15, v18, v4, v15
	v_div_fmas_f32 v18, v19, v23, v32
	v_trunc_f32_e32 v17, v13
	v_trunc_f32_e32 v19, v15
	v_div_fixup_f32 v14, v18, v4, v14
	v_trunc_f32_e32 v18, v11
	v_sub_f32_e32 v21, v13, v17
	v_sub_f32_e32 v16, v15, v19
	v_trunc_f32_e32 v20, v14
	v_sub_f32_e32 v23, v11, v18
	v_cmp_ge_f32_e64 s1, |v16|, 0.5
	v_sub_f32_e32 v22, v14, v20
	v_cndmask_b32_e64 v16, 0, 1.0, s1
	v_cmp_ge_f32_e64 s1, |v21|, 0.5
	v_bfi_b32 v15, 0x7fffffff, v16, v15
	v_cndmask_b32_e64 v16, 0, 1.0, s1
	v_cmp_ge_f32_e64 s1, |v22|, 0.5
	v_add_f32_e32 v15, v19, v15
	v_bfi_b32 v13, 0x7fffffff, v16, v13
	v_cndmask_b32_e64 v21, 0, 1.0, s1
	v_cmp_ge_f32_e64 s1, |v23|, 0.5
	v_mov_b32_e32 v16, 8
	v_cvt_i32_f32_e32 v15, v15
	v_add_f32_e32 v13, v17, v13
	v_bfi_b32 v14, 0x7fffffff, v21, v14
	v_cndmask_b32_e64 v19, 0, 1.0, s1
	v_and_b32_e32 v15, 0xff, v15
	v_cvt_i32_f32_e32 v13, v13
	v_add_f32_e32 v14, v20, v14
	v_bfi_b32 v11, 0x7fffffff, v19, v11
	v_lshlrev_b32_e32 v15, 16, v15
	v_lshlrev_b32_sdwa v13, v16, v13 dst_sel:DWORD dst_unused:UNUSED_PAD src0_sel:DWORD src1_sel:BYTE_0
	v_cvt_i32_f32_e32 v14, v14
	v_add_f32_e32 v11, v18, v11
	v_lshl_or_b32 v14, v14, 24, v15
	v_cvt_i32_f32_e32 v11, v11
	v_and_b32_e32 v11, 0xff, v11
	v_or3_b32 v16, v14, v13, v11
.LBB31_10:
	s_or_b32 exec_lo, exec_lo, s4
	v_and_b32_e32 v11, 7, v0
	ds_write_b32 v7, v16
	v_cmp_eq_u32_e64 s1, 0, v11
	s_and_saveexec_b32 s2, s1
	s_cbranch_execz .LBB31_12
; %bb.11:
	s_waitcnt lgkmcnt(1)
	v_add_f32_e32 v5, v5, v12
	ds_write_b64 v6, v[4:5] offset:256
.LBB31_12:
	s_or_b32 exec_lo, exec_lo, s2
	global_load_dwordx4 v[14:17], v[2:3], off offset:512
	s_mov_b32 s9, exec_lo
	s_waitcnt vmcnt(0)
	v_mul_f32_e32 v5, s28, v14
	v_mul_f32_e32 v11, s28, v15
	;; [unrolled: 1-line block ×3, first 2 shown]
	s_waitcnt lgkmcnt(1)
	v_mul_f32_e32 v12, s28, v17
	v_max_f32_e64 v2, |v5|, |v11|
	v_fma_f32 v4, s28, v14, v11
	v_max3_f32 v2, v2, |v13|, |v12|
	v_fmac_f32_e32 v4, s28, v16
	ds_bpermute_b32 v3, v8, v2
	v_fmac_f32_e32 v4, s28, v17
	ds_bpermute_b32 v8, v8, v4
	s_waitcnt lgkmcnt(1)
	v_max_f32_e32 v3, v3, v3
	v_max_f32_e32 v2, v2, v3
	ds_bpermute_b32 v3, v10, v2
	s_waitcnt lgkmcnt(0)
	v_max_f32_e32 v3, v3, v3
	v_max_f32_e32 v2, v2, v3
	;; [unrolled: 4-line block ×3, first 2 shown]
	v_add_f32_e32 v3, v4, v8
	v_div_scale_f32 v14, null, 0x42fe0000, 0x42fe0000, v2
	ds_bpermute_b32 v8, v10, v3
	v_div_scale_f32 v10, vcc_lo, v2, 0x42fe0000, v2
	v_rcp_f32_e32 v15, v14
	v_fma_f32 v4, -v14, v15, 1.0
	v_fmac_f32_e32 v15, v4, v15
	s_waitcnt lgkmcnt(0)
	v_add_f32_e32 v3, v3, v8
	v_mul_f32_e32 v16, v10, v15
	v_fma_f32 v4, -v14, v16, v10
	v_fmac_f32_e32 v16, v4, v15
	ds_bpermute_b32 v4, v9, v3
	v_fma_f32 v8, -v14, v16, v10
	v_div_fmas_f32 v8, v8, v15, v16
	v_div_fixup_f32 v2, v8, 0x42fe0000, v2
	v_mov_b32_e32 v8, 0
	v_cmpx_neq_f32_e32 0, v2
	s_cbranch_execz .LBB31_14
; %bb.13:
	v_div_scale_f32 v8, null, v2, v2, v5
	v_div_scale_f32 v9, null, v2, v2, v11
	;; [unrolled: 1-line block ×3, first 2 shown]
	v_rcp_f32_e32 v10, v8
	v_div_scale_f32 v15, null, v2, v2, v12
	v_rcp_f32_e32 v16, v9
	v_rcp_f32_e32 v17, v14
	v_div_scale_f32 v21, vcc_lo, v5, v2, v5
	v_rcp_f32_e32 v18, v15
	v_fma_f32 v19, -v8, v10, 1.0
	v_fma_f32 v20, -v9, v16, 1.0
	;; [unrolled: 1-line block ×3, first 2 shown]
	v_fmac_f32_e32 v10, v19, v10
	v_div_scale_f32 v19, s2, v11, v2, v11
	v_fma_f32 v23, -v15, v18, 1.0
	v_fmac_f32_e32 v16, v20, v16
	v_fmac_f32_e32 v17, v22, v17
	v_div_scale_f32 v20, s3, v13, v2, v13
	v_fmac_f32_e32 v18, v23, v18
	v_mul_f32_e32 v23, v21, v10
	v_mul_f32_e32 v24, v19, v16
	;; [unrolled: 1-line block ×3, first 2 shown]
	v_div_scale_f32 v22, s4, v12, v2, v12
	v_fma_f32 v27, -v8, v23, v21
	v_fma_f32 v28, -v9, v24, v19
	;; [unrolled: 1-line block ×3, first 2 shown]
	v_mul_f32_e32 v26, v22, v18
	v_fmac_f32_e32 v23, v27, v10
	v_fmac_f32_e32 v24, v28, v16
	;; [unrolled: 1-line block ×3, first 2 shown]
	v_fma_f32 v31, -v15, v26, v22
	v_fma_f32 v8, -v8, v23, v21
	;; [unrolled: 1-line block ×4, first 2 shown]
	v_fmac_f32_e32 v26, v31, v18
	v_div_fmas_f32 v8, v8, v10, v23
	s_mov_b32 vcc_lo, s2
	v_div_fmas_f32 v9, v9, v16, v24
	s_mov_b32 vcc_lo, s3
	v_div_fixup_f32 v5, v8, v2, v5
	v_div_fmas_f32 v10, v14, v17, v25
	v_fma_f32 v14, -v15, v26, v22
	s_mov_b32 vcc_lo, s4
	v_div_fixup_f32 v9, v9, v2, v11
	v_div_fixup_f32 v10, v10, v2, v13
	v_div_fmas_f32 v13, v14, v18, v26
	v_trunc_f32_e32 v14, v10
	v_div_fixup_f32 v8, v13, v2, v12
	v_trunc_f32_e32 v12, v9
	v_trunc_f32_e32 v13, v5
	v_sub_f32_e32 v11, v10, v14
	v_trunc_f32_e32 v15, v8
	v_sub_f32_e32 v16, v9, v12
	v_sub_f32_e32 v18, v5, v13
	v_cmp_ge_f32_e64 s2, |v11|, 0.5
	v_sub_f32_e32 v17, v8, v15
	v_cndmask_b32_e64 v11, 0, 1.0, s2
	v_cmp_ge_f32_e64 s2, |v16|, 0.5
	v_bfi_b32 v10, 0x7fffffff, v11, v10
	v_cndmask_b32_e64 v11, 0, 1.0, s2
	v_cmp_ge_f32_e64 s2, |v17|, 0.5
	v_add_f32_e32 v10, v14, v10
	v_bfi_b32 v9, 0x7fffffff, v11, v9
	v_cndmask_b32_e64 v16, 0, 1.0, s2
	v_cmp_ge_f32_e64 s2, |v18|, 0.5
	v_mov_b32_e32 v11, 8
	v_cvt_i32_f32_e32 v10, v10
	v_add_f32_e32 v9, v12, v9
	v_bfi_b32 v8, 0x7fffffff, v16, v8
	v_cndmask_b32_e64 v14, 0, 1.0, s2
	v_and_b32_e32 v10, 0xff, v10
	v_cvt_i32_f32_e32 v9, v9
	v_add_f32_e32 v8, v15, v8
	v_bfi_b32 v5, 0x7fffffff, v14, v5
	v_lshlrev_b32_e32 v10, 16, v10
	v_lshlrev_b32_sdwa v9, v11, v9 dst_sel:DWORD dst_unused:UNUSED_PAD src0_sel:DWORD src1_sel:BYTE_0
	v_cvt_i32_f32_e32 v8, v8
	v_add_f32_e32 v5, v13, v5
	v_lshl_or_b32 v8, v8, 24, v10
	v_cvt_i32_f32_e32 v5, v5
	v_and_b32_e32 v5, 0xff, v5
	v_or3_b32 v8, v8, v9, v5
.LBB31_14:
	s_or_b32 exec_lo, exec_lo, s9
	ds_write_b32 v7, v8 offset:128
	s_and_saveexec_b32 s2, s1
	s_cbranch_execz .LBB31_16
; %bb.15:
	s_waitcnt lgkmcnt(1)
	v_add_f32_e32 v3, v3, v4
	ds_write_b64 v6, v[2:3] offset:288
.LBB31_16:
	s_or_b32 exec_lo, exec_lo, s2
.LBB31_17:
	s_or_b32 exec_lo, exec_lo, s5
	v_and_b32_e32 v35, 1, v0
	s_waitcnt lgkmcnt(0)
	s_barrier
	buffer_gl0_inv
	s_cmp_eq_u64 s[22:23], 0
	v_lshlrev_b32_e32 v137, 2, v35
	s_mov_b32 s39, s42
	ds_read2_b32 v[56:57], v137 offset1:2
	ds_read2_b32 v[58:59], v137 offset0:4 offset1:6
	ds_read2_b32 v[60:61], v137 offset0:8 offset1:10
	;; [unrolled: 1-line block ×31, first 2 shown]
	ds_read_b128 v[2:5], v30 offset:256
	ds_read_b128 v[6:9], v30 offset:272
	;; [unrolled: 1-line block ×8, first 2 shown]
	s_waitcnt lgkmcnt(0)
	s_barrier
	buffer_gl0_inv
	s_cbranch_scc1 .LBB31_19
; %bb.18:
	s_load_dword s1, s[6:7], 0xd0
	s_mov_b32 s3, 0
	s_waitcnt lgkmcnt(0)
	s_mul_i32 s1, s1, s33
	s_add_i32 s2, s1, s8
	s_lshl_b64 s[2:3], s[2:3], 2
	s_add_u32 s2, s22, s2
	s_addc_u32 s3, s23, s3
	s_load_dword s39, s[2:3], 0x0
.LBB31_19:
	v_lshlrev_b32_e32 v36, 5, v1
	s_mov_b32 s22, 0xfeffffff
	s_mov_b32 s28, 0
	;; [unrolled: 1-line block ×4, first 2 shown]
	v_add_nc_u32_e32 v132, v36, v0
	v_mov_b32_e32 v125, s23
	v_mov_b32_e32 v55, s29
	v_add_nc_u32_e32 v135, 0xa00, v34
	v_mov_b32_e32 v124, s22
	v_mov_b32_e32 v54, s28
	v_mbcnt_lo_u32_b32 v136, -1, 0
	v_lshlrev_b32_e32 v134, 1, v132
	s_lshl_b32 s12, s34, 7
	s_waitcnt lgkmcnt(0)
	s_cmp_ge_i32 s12, s39
	s_cbranch_scc1 .LBB31_46
; %bb.20:
	s_clause 0x1
	s_load_dwordx4 s[8:11], s[6:7], 0x98
	s_load_dwordx2 s[2:3], s[6:7], 0x8c
	s_sub_i32 s4, 0, s44
	s_sub_i32 s5, 0, s43
	s_mul_i32 s4, s4, s48
	s_abs_i32 s13, s38
	s_mul_hi_u32 s4, s48, s4
	s_mul_i32 s5, s5, s47
	s_add_i32 s48, s48, s4
	s_ashr_i32 s49, s38, 31
	s_ashr_i32 s46, s46, 31
	;; [unrolled: 1-line block ×3, first 2 shown]
	s_mul_hi_u32 s4, s47, s5
	s_mul_hi_u32 s5, s13, s48
	s_xor_b32 s46, s49, s46
	s_add_i32 s47, s47, s4
	s_mul_i32 s4, s5, s44
	s_load_dwordx2 s[30:31], s[6:7], 0xa8
	s_sub_i32 s4, s13, s4
	s_abs_i32 s40, s33
	s_waitcnt lgkmcnt(0)
	v_mul_lo_u32 v138, v36, s10
	s_mul_hi_u32 s48, s8, s33
	s_mul_i32 s49, s8, s1
	s_mul_i32 s9, s9, s33
	s_add_i32 s48, s48, s49
	s_sub_i32 s13, s4, s44
	s_add_i32 s48, s48, s9
	s_add_i32 s9, s5, 1
	v_add_nc_u32_e32 v139, s10, v138
	s_cmp_ge_u32 s4, s44
	s_mul_i32 s8, s8, s33
	s_cselect_b32 s5, s9, s5
	s_cselect_b32 s4, s13, s4
	v_add_nc_u32_e32 v140, s10, v139
	s_add_i32 s9, s5, 1
	s_cmp_ge_u32 s4, s44
	v_and_b32_e32 v34, 30, v136
	s_cselect_b32 s9, s9, s5
	v_add_nc_u32_e32 v141, s10, v140
	s_xor_b32 s9, s9, s46
	s_load_dwordx2 s[4:5], s[6:7], 0xc8
	s_sub_i32 s9, s9, s46
	s_mul_hi_u32 s13, s30, s33
	v_add_nc_u32_e32 v142, s10, v141
	s_mul_i32 s3, s9, s3
	s_mul_i32 s44, s30, s1
	s_ashr_i32 s46, s3, 31
	s_add_u32 s8, s14, s8
	v_add_nc_u32_e32 v143, s10, v142
	s_addc_u32 s14, s15, s48
	s_add_u32 s3, s8, s3
	s_addc_u32 s14, s14, s46
	s_add_i32 s8, s13, s44
	v_add_nc_u32_e32 v144, s10, v143
	s_mul_i32 s13, s31, s33
	s_mul_i32 s9, s9, s11
	;; [unrolled: 1-line block ×3, first 2 shown]
	s_mul_hi_u32 s15, s40, s47
	v_add_nc_u32_e32 v145, s10, v144
	s_add_i32 s8, s8, s13
	s_ashr_i32 s13, s9, 31
	s_add_u32 s11, s16, s11
	s_addc_u32 s8, s17, s8
	v_add_nc_u32_e32 v146, s10, v145
	s_mul_i32 s15, s15, s43
	s_add_u32 s11, s11, s9
	s_addc_u32 s16, s8, s13
	s_sub_i32 s8, s40, s15
	v_add_nc_u32_e32 v147, s10, v146
	s_sub_i32 s9, s8, s43
	s_cmp_ge_u32 s8, s43
	s_load_dword s15, s[6:7], 0xd4
	s_cselect_b32 s8, s9, s8
	v_add_nc_u32_e32 v148, s10, v147
	s_sub_i32 s9, s8, s43
	s_cmp_ge_u32 s8, s43
	v_xor_b32_e32 v37, 1, v136
	s_cselect_b32 s8, s9, s8
	v_add_nc_u32_e32 v149, s10, v148
	s_xor_b32 s8, s8, s1
	v_add_nc_u32_e32 v34, 2, v34
	s_sub_i32 s1, s8, s1
	s_mov_b32 s13, s28
	v_add_nc_u32_e32 v150, s10, v149
	s_ashr_i32 s8, s1, 31
	s_waitcnt lgkmcnt(0)
	s_mul_hi_u32 s9, s4, s1
	s_mul_i32 s8, s4, s8
	s_mul_i32 s5, s5, s1
	v_add_nc_u32_e32 v152, s10, v150
	s_add_i32 s8, s9, s8
	s_mul_i32 s1, s4, s1
	s_add_i32 s8, s8, s5
	s_mul_i32 s5, s45, s35
	v_add_nc_u32_e32 v154, s10, v152
	s_add_u32 s1, s18, s1
	s_addc_u32 s4, s19, s8
	s_ashr_i32 s8, s5, 31
	s_add_u32 s1, s1, s5
	v_add_nc_u32_e32 v156, s10, v154
	s_addc_u32 s9, s4, s8
	s_lshl_b64 s[4:5], s[12:13], 1
	v_cmp_lt_i32_e32 vcc_lo, v37, v34
	s_add_u32 s8, s1, s4
	v_add_nc_u32_e32 v158, s10, v156
	s_mul_i32 s1, s10, s12
	s_addc_u32 s9, s9, s5
	s_add_u32 s5, s11, s1
	s_mul_i32 s1, s2, s12
	v_add_nc_u32_e32 v160, s10, v158
	v_and_b32_e32 v38, 0x7e, v0
	s_addc_u32 s11, s16, 0
	v_cndmask_b32_e32 v34, v136, v37, vcc_lo
	s_add_u32 s13, s3, s1
	v_add_nc_u32_e32 v162, s10, v160
	s_addc_u32 s16, s14, 0
	s_cmp_lg_u64 s[18:19], 0
	v_add_nc_u32_e32 v151, v36, v38
	s_cselect_b32 s30, -1, 0
	v_add_nc_u32_e32 v163, s10, v162
	s_lshl_b32 s14, s15, 7
	v_lshlrev_b32_e32 v155, 2, v34
	v_xor_b32_e32 v34, 2, v136
	s_cmp_lt_i32 s35, s36
	v_add_nc_u32_e32 v164, s10, v163
	s_cselect_b32 s1, -1, 0
	v_mul_lo_u32 v153, v151, s2
	s_and_b32 s19, s30, s1
	s_or_b32 s1, s35, 1
	v_add_nc_u32_e32 v165, s10, v164
	v_cmp_gt_i32_e32 vcc_lo, 32, v34
	s_cmp_lt_i32 s1, s36
	v_cmp_eq_u32_e64 s1, 0, v35
	v_xor_b32_e32 v35, 4, v136
	v_add_nc_u32_e32 v170, s10, v165
	v_xor_b32_e32 v37, 8, v136
	v_cndmask_b32_e32 v34, v136, v34, vcc_lo
	s_mul_i32 s17, s14, s2
	v_add_nc_u32_e32 v159, s2, v153
	v_add_nc_u32_e32 v174, s10, v170
	v_xor_b32_e32 v38, 16, v136
	v_cmp_gt_i32_e64 s2, 32, v35
	v_cmp_gt_i32_e64 s3, 32, v37
	v_lshlrev_b32_e32 v166, 2, v34
	v_add_nc_u32_e32 v179, s10, v174
	v_add_nc_u32_e32 v34, 0x80, v131
	;; [unrolled: 1-line block ×3, first 2 shown]
	v_cmp_gt_i32_e64 s4, 32, v38
	v_cndmask_b32_e64 v35, v136, v35, s2
	v_add_nc_u32_e32 v184, s10, v179
	s_cselect_b32 s31, -1, 0
	v_cndmask_b32_e64 v37, v136, v37, s3
	v_lshrrev_b32_e32 v176, 5, v34
	v_and_b32_e32 v177, 28, v34
	v_add_nc_u32_e32 v189, s10, v184
	s_ashr_i32 s2, s42, 31
	v_add_co_u32 v34, s3, s42, v151
	v_ashrrev_i32_e32 v40, 31, v39
	v_add_nc_u32_e32 v194, s10, v189
	v_cndmask_b32_e64 v38, v136, v38, s4
	v_lshlrev_b32_e32 v167, 2, v35
	v_add_co_ci_u32_e64 v35, null, s2, 0, s3
	v_add_nc_u32_e32 v199, s10, v194
	v_lshlrev_b32_e32 v168, 2, v37
	v_lshlrev_b32_e32 v169, 2, v38
	v_mov_b32_e32 v55, s29
	v_mov_b32_e32 v38, s23
	v_add_nc_u32_e32 v204, s10, v199
	v_lshlrev_b64 v[120:121], 1, v[39:40]
	v_lshlrev_b64 v[122:123], 1, v[34:35]
	v_ashrrev_i32_e32 v157, 31, v153
	v_ashrrev_i32_e32 v161, 31, v159
	v_add_nc_u32_e32 v209, s10, v204
	v_lshlrev_b32_e32 v171, 1, v36
	v_ashrrev_i32_e32 v172, 31, v138
	v_bfe_u32 v173, v0, 3, 27
	v_and_b32_e32 v175, 28, v131
	v_add_nc_u32_e32 v215, s10, v209
	v_ashrrev_i32_e32 v178, 31, v139
	v_ashrrev_i32_e32 v180, 31, v140
	;; [unrolled: 1-line block ×31, first 2 shown]
	v_mov_b32_e32 v54, s28
	v_mov_b32_e32 v37, s22
	v_mov_b32_e32 v217, 0x10001
	s_mov_b32 s15, s28
	s_mul_i32 s18, s14, s10
	s_and_b32 s4, s30, s31
	s_mov_b32 s10, 0xbbbac73d
	s_lshl_b64 s[2:3], s[14:15], 1
	s_branch .LBB31_22
.LBB31_21:                              ;   in Loop: Header=BB31_22 Depth=1
	v_add_f32_e32 v34, 0x40051340, v39
	v_add_f32_e32 v35, 0x40051340, v41
	;; [unrolled: 1-line block ×3, first 2 shown]
	v_mul_u32_u24_e32 v223, 34, v173
	v_mul_hi_u32_u24_e32 v222, 34, v173
	v_mul_u32_u24_e32 v225, 34, v176
	v_max3_f32 v34, v37, v34, v35
	v_mul_hi_u32_u24_e32 v224, 34, v176
	v_cndmask_b32_e64 v39, v41, v39, s1
	s_add_i32 s12, s14, s12
	s_add_u32 s13, s13, s17
	ds_bpermute_b32 v35, v166, v34
	s_addc_u32 s16, s16, 0
	s_waitcnt lgkmcnt(0)
	v_max_f32_e32 v35, v35, v35
	v_max_f32_e32 v34, v34, v35
	ds_bpermute_b32 v35, v167, v34
	s_waitcnt lgkmcnt(0)
	v_max_f32_e32 v35, v35, v35
	v_max_f32_e32 v34, v34, v35
	ds_bpermute_b32 v35, v168, v34
	;; [unrolled: 4-line block ×3, first 2 shown]
	s_waitcnt lgkmcnt(0)
	v_max_f32_e32 v35, v35, v35
	v_max_f32_e32 v124, v34, v35
	v_sub_f32_e32 v34, v37, v124
	v_sub_f32_e32 v39, v39, v124
	v_mul_f32_e32 v35, 0x3fb8aa3b, v34
	v_cmp_ngt_f32_e32 vcc_lo, 0xc2ce8ed0, v34
	v_mul_f32_e32 v41, 0x3fb8aa3b, v39
	v_fma_f32 v36, 0x3fb8aa3b, v34, -v35
	v_rndne_f32_e32 v37, v35
	v_fmac_f32_e32 v36, 0x32a5705f, v34
	v_sub_f32_e32 v35, v35, v37
	v_add_f32_e32 v35, v35, v36
	v_cvt_i32_f32_e32 v36, v37
	v_exp_f32_e32 v35, v35
	v_ldexp_f32 v35, v35, v36
	v_cndmask_b32_e32 v35, 0, v35, vcc_lo
	v_cmp_nlt_f32_e32 vcc_lo, 0x42b17218, v34
	v_cndmask_b32_e32 v218, 0x7f800000, v35, vcc_lo
	v_cvt_f16_f32_e32 v34, v218
	v_mul_u32_u24_sdwa v47, v34, v217 dst_sel:DWORD dst_unused:UNUSED_PAD src0_sel:WORD_0 src1_sel:DWORD
	ds_read_b128 v[34:37], v135
	ds_read_b128 v[43:46], v135 offset:16
	s_waitcnt lgkmcnt(1)
	v_pk_mul_f16 v34, v34, v47
	v_pk_mul_f16 v35, v35, v47
	;; [unrolled: 1-line block ×4, first 2 shown]
	v_add_f32_e32 v47, 0x40051340, v40
	v_cndmask_b32_e64 v40, v42, v40, s1
	v_fma_f32 v42, 0x3fb8aa3b, v39, -v41
	v_max3_f32 v47, v38, v47, v48
	v_fmac_f32_e32 v42, 0x32a5705f, v39
	ds_bpermute_b32 v48, v166, v47
	s_waitcnt lgkmcnt(0)
	v_max_f32_e32 v48, v48, v48
	v_max_f32_e32 v47, v47, v48
	ds_bpermute_b32 v48, v167, v47
	s_waitcnt lgkmcnt(0)
	v_max_f32_e32 v48, v48, v48
	v_max_f32_e32 v47, v47, v48
	ds_bpermute_b32 v48, v168, v47
	s_waitcnt lgkmcnt(0)
	v_max_f32_e32 v48, v48, v48
	v_max_f32_e32 v47, v47, v48
	ds_bpermute_b32 v48, v169, v47
	s_waitcnt lgkmcnt(0)
	v_max_f32_e32 v48, v48, v48
	v_max_f32_e32 v125, v47, v48
	v_sub_f32_e32 v38, v38, v125
	v_sub_f32_e32 v40, v40, v125
	v_mul_f32_e32 v47, 0x3fb8aa3b, v38
	v_cmp_ngt_f32_e32 vcc_lo, 0xc2ce8ed0, v38
	v_fma_f32 v48, 0x3fb8aa3b, v38, -v47
	v_rndne_f32_e32 v49, v47
	v_fmac_f32_e32 v48, 0x32a5705f, v38
	v_sub_f32_e32 v47, v47, v49
	v_add_f32_e32 v47, v47, v48
	v_cvt_i32_f32_e32 v48, v49
	v_exp_f32_e32 v47, v47
	v_ldexp_f32 v47, v47, v48
	v_cndmask_b32_e32 v47, 0, v47, vcc_lo
	v_cmp_nlt_f32_e32 vcc_lo, 0x42b17218, v38
	v_cndmask_b32_e32 v219, 0x7f800000, v47, vcc_lo
	v_cvt_f16_f32_e32 v38, v219
	v_mul_u32_u24_sdwa v38, v38, v217 dst_sel:DWORD dst_unused:UNUSED_PAD src0_sel:WORD_0 src1_sel:DWORD
	v_pk_mul_f16 v126, v43, v38
	v_pk_mul_f16 v127, v44, v38
	;; [unrolled: 1-line block ×4, first 2 shown]
	v_add_co_u32 v38, vcc_lo, s5, v138
	v_add_co_ci_u32_e64 v51, null, s11, v172, vcc_lo
	v_add_co_u32 v43, vcc_lo, v38, v223
	v_add_co_ci_u32_e64 v44, null, v51, v222, vcc_lo
	;; [unrolled: 2-line block ×4, first 2 shown]
	global_load_dword v45, v[45:46], off offset:2
	v_add_co_u32 v46, vcc_lo, v48, v223
	v_add_co_ci_u32_e64 v47, null, v49, v222, vcc_lo
	v_add_co_u32 v48, vcc_lo, v48, v225
	v_add_co_ci_u32_e64 v49, null, v49, v224, vcc_lo
	;; [unrolled: 2-line block ×3, first 2 shown]
	s_clause 0x3
	global_load_ushort v128, v[48:49], off
	global_load_ushort v129, v[46:47], off
	;; [unrolled: 1-line block ×4, first 2 shown]
	v_rndne_f32_e32 v43, v41
	v_cmp_ngt_f32_e32 vcc_lo, 0xc2ce8ed0, v39
	ds_write_b128 v135, v[34:37]
	v_sub_f32_e32 v41, v41, v43
	v_cvt_i32_f32_e32 v43, v43
	v_add_f32_e32 v41, v41, v42
	v_mul_f32_e32 v42, 0x3fb8aa3b, v40
	v_exp_f32_e32 v41, v41
	v_fma_f32 v44, 0x3fb8aa3b, v40, -v42
	v_rndne_f32_e32 v220, v42
	v_fmac_f32_e32 v44, 0x32a5705f, v40
	v_sub_f32_e32 v42, v42, v220
	v_ldexp_f32 v41, v41, v43
	v_cvt_i32_f32_e32 v43, v220
	v_add_f32_e32 v42, v42, v44
	v_cndmask_b32_e32 v41, 0, v41, vcc_lo
	v_cmp_nlt_f32_e32 vcc_lo, 0x42b17218, v39
	v_exp_f32_e32 v42, v42
	v_cndmask_b32_e32 v220, 0x7f800000, v41, vcc_lo
	v_cmp_ngt_f32_e32 vcc_lo, 0xc2ce8ed0, v40
	v_cvt_f16_f32_e32 v39, v220
	v_ldexp_f32 v42, v42, v43
	v_fma_f32 v54, v218, v54, v220
	ds_write_b16 v134, v39
	v_cndmask_b32_e32 v39, 0, v42, vcc_lo
	v_cmp_nlt_f32_e32 vcc_lo, 0x42b17218, v40
	v_cndmask_b32_e32 v221, 0x7f800000, v39, vcc_lo
	v_add_co_u32 v229, vcc_lo, v50, v177
	v_add_co_ci_u32_e64 v230, null, 0, v51, vcc_lo
	v_cvt_f16_f32_e32 v39, v221
	v_add_co_u32 v231, vcc_lo, v46, v175
	v_add_co_ci_u32_e64 v232, null, 0, v47, vcc_lo
	ds_write_b16 v134, v39 offset:256
	v_add_co_u32 v233, vcc_lo, v48, v177
	v_add_co_ci_u32_e64 v234, null, 0, v49, vcc_lo
	v_fma_f32 v55, v219, v55, v221
	s_waitcnt vmcnt(4)
	v_pk_lshrrev_b16 v39, 8, v45 op_sel:[1,0] op_sel_hi:[0,0]
	v_lshrrev_b32_e32 v40, 16, v39
	v_cvt_f16_i16_sdwa v39, sext(v39) dst_sel:DWORD dst_unused:UNUSED_PAD src0_sel:BYTE_0
	v_cvt_f16_i16_sdwa v40, sext(v40) dst_sel:DWORD dst_unused:UNUSED_PAD src0_sel:BYTE_0
	s_waitcnt vmcnt(2)
	v_mul_u32_u24_e32 v129, 0x10001, v129
	s_waitcnt vmcnt(1)
	v_mul_u32_u24_e32 v226, 0x10001, v226
	;; [unrolled: 2-line block ×3, first 2 shown]
	v_pack_b32_f16 v39, v39, v40
	v_pk_lshrrev_b16 v40, 8, v45 op_sel:[1,1] op_sel_hi:[0,1]
	v_pk_mul_f16 v227, v39, v38
	v_lshrrev_b32_e32 v41, 16, v40
	v_cvt_f16_i16_sdwa v40, sext(v40) dst_sel:DWORD dst_unused:UNUSED_PAD src0_sel:BYTE_0
	v_cvt_f16_i16_sdwa v41, sext(v41) dst_sel:DWORD dst_unused:UNUSED_PAD src0_sel:BYTE_0
	v_pack_b32_f16 v40, v40, v41
	v_pk_mul_f16 v228, v40, v38
	ds_read_b128 v[42:45], v171
	ds_read_b128 v[38:41], v171 offset:16
	s_waitcnt lgkmcnt(1)
	v_mul_u32_u24_sdwa v235, v42, v217 dst_sel:DWORD dst_unused:UNUSED_PAD src0_sel:WORD_0 src1_sel:DWORD
	v_mul_u32_u24_sdwa v42, v42, v217 dst_sel:DWORD dst_unused:UNUSED_PAD src0_sel:WORD_1 src1_sel:DWORD
	v_pk_fma_f16 v236, v227, v235, v34
	v_pk_fma_f16 v237, v228, v235, v35
	ds_read_b128 v[46:49], v171 offset:256
	ds_read_b128 v[34:37], v171 offset:272
	s_waitcnt lgkmcnt(1)
	v_mul_u32_u24_sdwa v238, v46, v217 dst_sel:DWORD dst_unused:UNUSED_PAD src0_sel:WORD_0 src1_sel:DWORD
	v_mul_u32_u24_sdwa v46, v46, v217 dst_sel:DWORD dst_unused:UNUSED_PAD src0_sel:WORD_1 src1_sel:DWORD
	v_pk_fma_f16 v50, v227, v238, v126
	global_load_dword v126, v[229:230], off offset:2
	v_pk_fma_f16 v51, v228, v238, v127
	s_waitcnt vmcnt(0)
	v_pk_lshrrev_b16 v127, 8, v126 op_sel:[1,0] op_sel_hi:[0,0]
	v_pk_lshrrev_b16 v126, 8, v126 op_sel:[1,1] op_sel_hi:[0,1]
	v_lshrrev_b32_e32 v227, 16, v127
	v_cvt_f16_i16_sdwa v127, sext(v127) dst_sel:DWORD dst_unused:UNUSED_PAD src0_sel:BYTE_0
	v_cvt_f16_i16_sdwa v227, sext(v227) dst_sel:DWORD dst_unused:UNUSED_PAD src0_sel:BYTE_0
	v_pack_b32_f16 v127, v127, v227
	v_lshrrev_b32_e32 v227, 16, v126
	v_cvt_f16_i16_sdwa v126, sext(v126) dst_sel:DWORD dst_unused:UNUSED_PAD src0_sel:BYTE_0
	v_cvt_f16_i16_sdwa v227, sext(v227) dst_sel:DWORD dst_unused:UNUSED_PAD src0_sel:BYTE_0
	v_pack_b32_f16 v126, v126, v227
	v_pk_mul_f16 v227, v127, v226
	v_pk_mul_f16 v226, v126, v226
	s_clause 0x1
	global_load_dword v126, v[231:232], off offset:2
	global_load_dword v127, v[233:234], off offset:2
	v_pk_fma_f16 v52, v227, v238, v52
	v_pk_fma_f16 v53, v226, v238, v53
	ds_write_b128 v135, v[50:53] offset:16
	s_waitcnt vmcnt(1)
	v_pk_lshrrev_b16 v228, 8, v126 op_sel:[1,0] op_sel_hi:[0,0]
	v_pk_lshrrev_b16 v126, 8, v126 op_sel:[1,1] op_sel_hi:[0,1]
	v_lshrrev_b32_e32 v229, 16, v228
	v_cvt_f16_i16_sdwa v228, sext(v228) dst_sel:DWORD dst_unused:UNUSED_PAD src0_sel:BYTE_0
	v_cvt_f16_i16_sdwa v229, sext(v229) dst_sel:DWORD dst_unused:UNUSED_PAD src0_sel:BYTE_0
	v_pack_b32_f16 v228, v228, v229
	v_lshrrev_b32_e32 v229, 16, v126
	v_cvt_f16_i16_sdwa v126, sext(v126) dst_sel:DWORD dst_unused:UNUSED_PAD src0_sel:BYTE_0
	v_pk_mul_f16 v228, v228, v129
	v_cvt_f16_i16_sdwa v229, sext(v229) dst_sel:DWORD dst_unused:UNUSED_PAD src0_sel:BYTE_0
	v_pack_b32_f16 v126, v126, v229
	s_waitcnt vmcnt(0)
	v_pk_lshrrev_b16 v229, 8, v127 op_sel:[1,0] op_sel_hi:[0,0]
	v_pk_lshrrev_b16 v127, 8, v127 op_sel:[1,1] op_sel_hi:[0,1]
	v_lshrrev_b32_e32 v230, 16, v229
	v_cvt_f16_i16_sdwa v229, sext(v229) dst_sel:DWORD dst_unused:UNUSED_PAD src0_sel:BYTE_0
	v_cvt_f16_i16_sdwa v230, sext(v230) dst_sel:DWORD dst_unused:UNUSED_PAD src0_sel:BYTE_0
	v_pack_b32_f16 v229, v229, v230
	v_lshrrev_b32_e32 v230, 16, v127
	v_cvt_f16_i16_sdwa v127, sext(v127) dst_sel:DWORD dst_unused:UNUSED_PAD src0_sel:BYTE_0
	v_cvt_f16_i16_sdwa v230, sext(v230) dst_sel:DWORD dst_unused:UNUSED_PAD src0_sel:BYTE_0
	v_pack_b32_f16 v127, v127, v230
	v_pk_mul_f16 v230, v126, v129
	v_mul_u32_u24_e32 v126, 0x10001, v128
	v_pk_mul_f16 v229, v229, v126
	v_pk_mul_f16 v231, v127, v126
	v_pk_fma_f16 v126, v228, v46, v50
	v_pk_fma_f16 v127, v230, v46, v51
	ds_read_b64 v[50:51], v135 offset:8
	v_pk_fma_f16 v128, v229, v46, v52
	v_pk_fma_f16 v129, v231, v46, v53
	s_waitcnt lgkmcnt(0)
	v_pk_fma_f16 v46, v227, v235, v50
	v_pk_fma_f16 v53, v226, v235, v51
	v_pk_fma_f16 v50, v228, v42, v236
	v_pk_fma_f16 v51, v230, v42, v237
	v_pk_fma_f16 v52, v229, v42, v46
	v_pk_fma_f16 v53, v231, v42, v53
	v_add_co_u32 v42, vcc_lo, s5, v140
	v_add_co_ci_u32_e64 v46, null, s11, v180, vcc_lo
	v_add_co_u32 v226, vcc_lo, v42, v223
	v_add_co_ci_u32_e64 v227, null, v46, v222, vcc_lo
	;; [unrolled: 2-line block ×3, first 2 shown]
	global_load_dword v234, v[228:229], off offset:2
	v_add_co_u32 v228, vcc_lo, v42, v225
	v_add_co_ci_u32_e64 v229, null, v46, v224, vcc_lo
	v_add_co_u32 v230, vcc_lo, v228, v177
	v_add_co_ci_u32_e64 v231, null, 0, v229, vcc_lo
	;; [unrolled: 2-line block ×3, first 2 shown]
	global_load_dword v42, v[230:231], off offset:2
	v_add_co_u32 v230, vcc_lo, v46, v225
	v_add_co_ci_u32_e64 v231, null, v233, v224, vcc_lo
	v_add_co_u32 v232, vcc_lo, v46, v223
	v_add_co_ci_u32_e64 v233, null, v233, v222, vcc_lo
	s_clause 0x3
	global_load_ushort v46, v[230:231], off
	global_load_ushort v235, v[232:233], off
	;; [unrolled: 1-line block ×4, first 2 shown]
	ds_write_b128 v135, v[50:53]
	ds_write_b128 v135, v[126:129] offset:16
	s_waitcnt vmcnt(5)
	v_pk_lshrrev_b16 v227, 8, v234 op_sel:[1,0] op_sel_hi:[0,0]
	v_lshrrev_b32_e32 v229, 16, v227
	v_cvt_f16_i16_sdwa v227, sext(v227) dst_sel:DWORD dst_unused:UNUSED_PAD src0_sel:BYTE_0
	v_cvt_f16_i16_sdwa v229, sext(v229) dst_sel:DWORD dst_unused:UNUSED_PAD src0_sel:BYTE_0
	v_pack_b32_f16 v227, v227, v229
	v_pk_lshrrev_b16 v229, 8, v234 op_sel:[1,1] op_sel_hi:[0,1]
	v_lshrrev_b32_e32 v234, 16, v229
	v_cvt_f16_i16_sdwa v229, sext(v229) dst_sel:DWORD dst_unused:UNUSED_PAD src0_sel:BYTE_0
	s_waitcnt vmcnt(3)
	v_mul_u32_u24_e32 v46, 0x10001, v46
	s_waitcnt vmcnt(0)
	v_mul_u32_u24_e32 v226, 0x10001, v226
	v_cvt_f16_i16_sdwa v234, sext(v234) dst_sel:DWORD dst_unused:UNUSED_PAD src0_sel:BYTE_0
	v_pack_b32_f16 v229, v229, v234
	v_pk_lshrrev_b16 v234, 8, v42 op_sel:[1,0] op_sel_hi:[0,0]
	v_pk_lshrrev_b16 v42, 8, v42 op_sel:[1,1] op_sel_hi:[0,1]
	v_pk_mul_f16 v237, v229, v226
	v_lshrrev_b32_e32 v236, 16, v234
	v_cvt_f16_i16_sdwa v234, sext(v234) dst_sel:DWORD dst_unused:UNUSED_PAD src0_sel:BYTE_0
	v_mul_u32_u24_sdwa v229, v43, v217 dst_sel:DWORD dst_unused:UNUSED_PAD src0_sel:WORD_0 src1_sel:DWORD
	v_mul_u32_u24_sdwa v43, v43, v217 dst_sel:DWORD dst_unused:UNUSED_PAD src0_sel:WORD_1 src1_sel:DWORD
	v_cvt_f16_i16_sdwa v236, sext(v236) dst_sel:DWORD dst_unused:UNUSED_PAD src0_sel:BYTE_0
	v_pack_b32_f16 v234, v234, v236
	v_lshrrev_b32_e32 v236, 16, v42
	v_cvt_f16_i16_sdwa v42, sext(v42) dst_sel:DWORD dst_unused:UNUSED_PAD src0_sel:BYTE_0
	v_cvt_f16_i16_sdwa v236, sext(v236) dst_sel:DWORD dst_unused:UNUSED_PAD src0_sel:BYTE_0
	v_pack_b32_f16 v42, v42, v236
	v_pk_mul_f16 v236, v227, v226
	v_mul_u32_u24_e32 v226, 0x10001, v228
	v_pk_fma_f16 v227, v237, v229, v51
	v_pk_mul_f16 v234, v234, v226
	v_pk_mul_f16 v42, v42, v226
	v_pk_fma_f16 v226, v236, v229, v50
	v_pk_fma_f16 v228, v234, v229, v52
	;; [unrolled: 1-line block ×3, first 2 shown]
	v_mul_u32_u24_sdwa v53, v47, v217 dst_sel:DWORD dst_unused:UNUSED_PAD src0_sel:WORD_0 src1_sel:DWORD
	v_pk_fma_f16 v50, v236, v53, v126
	v_add_co_u32 v126, vcc_lo, v232, v175
	v_pk_fma_f16 v51, v237, v53, v127
	v_pk_fma_f16 v52, v234, v53, v128
	v_add_co_ci_u32_e64 v127, null, 0, v233, vcc_lo
	v_add_co_u32 v128, vcc_lo, v230, v177
	v_pk_fma_f16 v53, v42, v53, v129
	v_add_co_ci_u32_e64 v129, null, 0, v231, vcc_lo
	s_clause 0x1
	global_load_dword v42, v[126:127], off offset:2
	global_load_dword v126, v[128:129], off offset:2
	ds_write_b128 v135, v[226:229]
	ds_write_b128 v135, v[50:53] offset:16
	s_waitcnt vmcnt(1)
	v_pk_lshrrev_b16 v127, 8, v42 op_sel:[1,0] op_sel_hi:[0,0]
	v_pk_lshrrev_b16 v42, 8, v42 op_sel:[1,1] op_sel_hi:[0,1]
	v_lshrrev_b32_e32 v128, 16, v127
	v_cvt_f16_i16_sdwa v127, sext(v127) dst_sel:DWORD dst_unused:UNUSED_PAD src0_sel:BYTE_0
	v_cvt_f16_i16_sdwa v128, sext(v128) dst_sel:DWORD dst_unused:UNUSED_PAD src0_sel:BYTE_0
	v_pack_b32_f16 v127, v127, v128
	v_lshrrev_b32_e32 v128, 16, v42
	v_cvt_f16_i16_sdwa v42, sext(v42) dst_sel:DWORD dst_unused:UNUSED_PAD src0_sel:BYTE_0
	v_cvt_f16_i16_sdwa v128, sext(v128) dst_sel:DWORD dst_unused:UNUSED_PAD src0_sel:BYTE_0
	v_pack_b32_f16 v42, v42, v128
	s_waitcnt vmcnt(0)
	v_pk_lshrrev_b16 v128, 8, v126 op_sel:[1,0] op_sel_hi:[0,0]
	v_pk_lshrrev_b16 v126, 8, v126 op_sel:[1,1] op_sel_hi:[0,1]
	v_lshrrev_b32_e32 v129, 16, v128
	v_cvt_f16_i16_sdwa v128, sext(v128) dst_sel:DWORD dst_unused:UNUSED_PAD src0_sel:BYTE_0
	v_cvt_f16_i16_sdwa v129, sext(v129) dst_sel:DWORD dst_unused:UNUSED_PAD src0_sel:BYTE_0
	v_pack_b32_f16 v128, v128, v129
	v_lshrrev_b32_e32 v129, 16, v126
	v_cvt_f16_i16_sdwa v126, sext(v126) dst_sel:DWORD dst_unused:UNUSED_PAD src0_sel:BYTE_0
	v_pk_mul_f16 v231, v128, v46
	v_cvt_f16_i16_sdwa v129, sext(v129) dst_sel:DWORD dst_unused:UNUSED_PAD src0_sel:BYTE_0
	v_pk_fma_f16 v128, v231, v43, v228
	v_pack_b32_f16 v126, v126, v129
	v_mul_u32_u24_e32 v129, 0x10001, v235
	v_pk_mul_f16 v46, v126, v46
	v_pk_mul_f16 v230, v127, v129
	;; [unrolled: 1-line block ×3, first 2 shown]
	v_pk_fma_f16 v129, v46, v43, v229
	v_pk_fma_f16 v126, v230, v43, v226
	;; [unrolled: 1-line block ×3, first 2 shown]
	v_mul_u32_u24_sdwa v43, v47, v217 dst_sel:DWORD dst_unused:UNUSED_PAD src0_sel:WORD_1 src1_sel:DWORD
	v_pk_fma_f16 v226, v230, v43, v50
	v_add_co_u32 v50, vcc_lo, s5, v142
	v_pk_fma_f16 v227, v42, v43, v51
	v_add_co_ci_u32_e64 v51, null, s11, v182, vcc_lo
	v_add_co_u32 v42, vcc_lo, v50, v223
	v_pk_fma_f16 v228, v231, v43, v52
	v_pk_fma_f16 v229, v46, v43, v53
	v_add_co_ci_u32_e64 v43, null, v51, v222, vcc_lo
	v_add_co_u32 v46, vcc_lo, v42, v175
	v_add_co_ci_u32_e64 v47, null, 0, v43, vcc_lo
	global_load_dword v52, v[46:47], off offset:2
	v_add_co_u32 v46, vcc_lo, v50, v225
	v_add_co_ci_u32_e64 v47, null, v51, v224, vcc_lo
	v_add_co_u32 v50, vcc_lo, s5, v143
	v_add_co_ci_u32_e64 v51, null, s11, v183, vcc_lo
	v_add_co_u32 v230, vcc_lo, v50, v223
	v_add_co_ci_u32_e64 v231, null, v51, v222, vcc_lo
	v_add_co_u32 v232, vcc_lo, v50, v225
	v_add_co_ci_u32_e64 v233, null, v51, v224, vcc_lo
	v_add_co_u32 v50, vcc_lo, v46, v177
	v_add_co_ci_u32_e64 v51, null, 0, v47, vcc_lo
	s_clause 0x4
	global_load_ushort v234, v[232:233], off
	global_load_ushort v235, v[230:231], off
	;; [unrolled: 1-line block ×4, first 2 shown]
	global_load_dword v43, v[50:51], off offset:2
	ds_write_b128 v135, v[126:129]
	ds_write_b128 v135, v[226:229] offset:16
	s_waitcnt vmcnt(5)
	v_pk_lshrrev_b16 v47, 8, v52 op_sel:[1,0] op_sel_hi:[0,0]
	v_lshrrev_b32_e32 v50, 16, v47
	v_cvt_f16_i16_sdwa v47, sext(v47) dst_sel:DWORD dst_unused:UNUSED_PAD src0_sel:BYTE_0
	v_cvt_f16_i16_sdwa v50, sext(v50) dst_sel:DWORD dst_unused:UNUSED_PAD src0_sel:BYTE_0
	v_pack_b32_f16 v47, v47, v50
	v_pk_lshrrev_b16 v50, 8, v52 op_sel:[1,1] op_sel_hi:[0,1]
	s_waitcnt vmcnt(2)
	v_mul_u32_u24_e32 v46, 0x10001, v46
	v_lshrrev_b32_e32 v51, 16, v50
	v_cvt_f16_i16_sdwa v50, sext(v50) dst_sel:DWORD dst_unused:UNUSED_PAD src0_sel:BYTE_0
	s_waitcnt vmcnt(1)
	v_mul_u32_u24_e32 v42, 0x10001, v42
	v_cvt_f16_i16_sdwa v51, sext(v51) dst_sel:DWORD dst_unused:UNUSED_PAD src0_sel:BYTE_0
	v_pk_mul_f16 v47, v47, v42
	v_pack_b32_f16 v50, v50, v51
	v_pk_mul_f16 v42, v50, v42
	s_waitcnt vmcnt(0)
	v_pk_lshrrev_b16 v50, 8, v43 op_sel:[1,0] op_sel_hi:[0,0]
	v_pk_lshrrev_b16 v43, 8, v43 op_sel:[1,1] op_sel_hi:[0,1]
	v_lshrrev_b32_e32 v51, 16, v50
	v_cvt_f16_i16_sdwa v50, sext(v50) dst_sel:DWORD dst_unused:UNUSED_PAD src0_sel:BYTE_0
	v_cvt_f16_i16_sdwa v51, sext(v51) dst_sel:DWORD dst_unused:UNUSED_PAD src0_sel:BYTE_0
	v_pack_b32_f16 v50, v50, v51
	v_lshrrev_b32_e32 v51, 16, v43
	v_cvt_f16_i16_sdwa v43, sext(v43) dst_sel:DWORD dst_unused:UNUSED_PAD src0_sel:BYTE_0
	v_pk_mul_f16 v236, v50, v46
	v_cvt_f16_i16_sdwa v51, sext(v51) dst_sel:DWORD dst_unused:UNUSED_PAD src0_sel:BYTE_0
	v_pack_b32_f16 v43, v43, v51
	v_pk_mul_f16 v43, v43, v46
	v_mul_u32_u24_sdwa v46, v44, v217 dst_sel:DWORD dst_unused:UNUSED_PAD src0_sel:WORD_0 src1_sel:DWORD
	v_mul_u32_u24_sdwa v44, v44, v217 dst_sel:DWORD dst_unused:UNUSED_PAD src0_sel:WORD_1 src1_sel:DWORD
	v_pk_fma_f16 v50, v47, v46, v126
	v_pk_fma_f16 v51, v42, v46, v127
	;; [unrolled: 1-line block ×4, first 2 shown]
	v_mul_u32_u24_sdwa v46, v48, v217 dst_sel:DWORD dst_unused:UNUSED_PAD src0_sel:WORD_0 src1_sel:DWORD
	v_pk_fma_f16 v127, v42, v46, v227
	v_add_co_u32 v42, vcc_lo, v230, v175
	v_pk_fma_f16 v126, v47, v46, v226
	v_pk_fma_f16 v128, v236, v46, v228
	;; [unrolled: 1-line block ×3, first 2 shown]
	v_add_co_ci_u32_e64 v43, null, 0, v231, vcc_lo
	v_add_co_u32 v46, vcc_lo, v232, v177
	v_add_co_ci_u32_e64 v47, null, 0, v233, vcc_lo
	s_clause 0x1
	global_load_dword v42, v[42:43], off offset:2
	global_load_dword v43, v[46:47], off offset:2
	ds_write_b128 v135, v[50:53]
	ds_write_b128 v135, v[126:129] offset:16
	s_waitcnt vmcnt(1)
	v_pk_lshrrev_b16 v46, 8, v42 op_sel:[1,0] op_sel_hi:[0,0]
	v_pk_lshrrev_b16 v42, 8, v42 op_sel:[1,1] op_sel_hi:[0,1]
	v_lshrrev_b32_e32 v47, 16, v46
	v_cvt_f16_i16_sdwa v46, sext(v46) dst_sel:DWORD dst_unused:UNUSED_PAD src0_sel:BYTE_0
	v_cvt_f16_i16_sdwa v47, sext(v47) dst_sel:DWORD dst_unused:UNUSED_PAD src0_sel:BYTE_0
	v_pack_b32_f16 v46, v46, v47
	v_lshrrev_b32_e32 v47, 16, v42
	v_cvt_f16_i16_sdwa v42, sext(v42) dst_sel:DWORD dst_unused:UNUSED_PAD src0_sel:BYTE_0
	v_cvt_f16_i16_sdwa v47, sext(v47) dst_sel:DWORD dst_unused:UNUSED_PAD src0_sel:BYTE_0
	v_pack_b32_f16 v42, v42, v47
	v_mul_u32_u24_e32 v47, 0x10001, v235
	v_pk_mul_f16 v46, v46, v47
	v_pk_mul_f16 v42, v42, v47
	s_waitcnt vmcnt(0)
	v_pk_lshrrev_b16 v47, 8, v43 op_sel:[1,0] op_sel_hi:[0,0]
	v_pk_lshrrev_b16 v43, 8, v43 op_sel:[1,1] op_sel_hi:[0,1]
	v_pk_fma_f16 v227, v42, v44, v51
	v_lshrrev_b32_e32 v226, 16, v47
	v_cvt_f16_i16_sdwa v47, sext(v47) dst_sel:DWORD dst_unused:UNUSED_PAD src0_sel:BYTE_0
	v_cvt_f16_i16_sdwa v226, sext(v226) dst_sel:DWORD dst_unused:UNUSED_PAD src0_sel:BYTE_0
	v_pack_b32_f16 v47, v47, v226
	v_lshrrev_b32_e32 v226, 16, v43
	v_cvt_f16_i16_sdwa v43, sext(v43) dst_sel:DWORD dst_unused:UNUSED_PAD src0_sel:BYTE_0
	v_cvt_f16_i16_sdwa v226, sext(v226) dst_sel:DWORD dst_unused:UNUSED_PAD src0_sel:BYTE_0
	v_pack_b32_f16 v43, v43, v226
	v_mul_u32_u24_e32 v226, 0x10001, v234
	v_pk_mul_f16 v47, v47, v226
	v_pk_mul_f16 v43, v43, v226
	v_pk_fma_f16 v226, v46, v44, v50
	v_pk_fma_f16 v228, v47, v44, v52
	;; [unrolled: 1-line block ×3, first 2 shown]
	v_mul_u32_u24_sdwa v44, v48, v217 dst_sel:DWORD dst_unused:UNUSED_PAD src0_sel:WORD_1 src1_sel:DWORD
	v_pk_fma_f16 v50, v46, v44, v126
	v_pk_fma_f16 v51, v42, v44, v127
	;; [unrolled: 1-line block ×4, first 2 shown]
	v_add_co_u32 v44, vcc_lo, s5, v144
	v_add_co_ci_u32_e64 v48, null, s11, v185, vcc_lo
	v_add_co_u32 v42, vcc_lo, v44, v223
	v_add_co_ci_u32_e64 v43, null, v48, v222, vcc_lo
	;; [unrolled: 2-line block ×3, first 2 shown]
	global_load_dword v128, v[46:47], off offset:2
	v_add_co_u32 v46, vcc_lo, v44, v225
	v_add_co_ci_u32_e64 v47, null, v48, v224, vcc_lo
	v_add_co_u32 v44, vcc_lo, s5, v145
	v_add_co_ci_u32_e64 v48, null, s11, v186, vcc_lo
	;; [unrolled: 2-line block ×5, first 2 shown]
	s_clause 0x4
	global_load_ushort v48, v[232:233], off
	global_load_ushort v234, v[230:231], off
	;; [unrolled: 1-line block ×4, first 2 shown]
	global_load_dword v43, v[126:127], off offset:2
	ds_write_b128 v135, v[226:229]
	ds_write_b128 v135, v[50:53] offset:16
	s_waitcnt vmcnt(5)
	v_pk_lshrrev_b16 v46, 8, v128 op_sel:[1,0] op_sel_hi:[0,0]
	v_lshrrev_b32_e32 v47, 16, v46
	v_cvt_f16_i16_sdwa v46, sext(v46) dst_sel:DWORD dst_unused:UNUSED_PAD src0_sel:BYTE_0
	v_cvt_f16_i16_sdwa v47, sext(v47) dst_sel:DWORD dst_unused:UNUSED_PAD src0_sel:BYTE_0
	v_pack_b32_f16 v46, v46, v47
	v_pk_lshrrev_b16 v47, 8, v128 op_sel:[1,1] op_sel_hi:[0,1]
	s_waitcnt vmcnt(2)
	v_mul_u32_u24_e32 v44, 0x10001, v44
	v_lshrrev_b32_e32 v126, 16, v47
	v_cvt_f16_i16_sdwa v47, sext(v47) dst_sel:DWORD dst_unused:UNUSED_PAD src0_sel:BYTE_0
	s_waitcnt vmcnt(1)
	v_mul_u32_u24_e32 v42, 0x10001, v42
	v_cvt_f16_i16_sdwa v126, sext(v126) dst_sel:DWORD dst_unused:UNUSED_PAD src0_sel:BYTE_0
	v_pk_mul_f16 v46, v46, v42
	v_pack_b32_f16 v47, v47, v126
	v_pk_mul_f16 v42, v47, v42
	s_waitcnt vmcnt(0)
	v_pk_lshrrev_b16 v47, 8, v43 op_sel:[1,0] op_sel_hi:[0,0]
	v_pk_lshrrev_b16 v43, 8, v43 op_sel:[1,1] op_sel_hi:[0,1]
	v_lshrrev_b32_e32 v126, 16, v47
	v_cvt_f16_i16_sdwa v47, sext(v47) dst_sel:DWORD dst_unused:UNUSED_PAD src0_sel:BYTE_0
	v_cvt_f16_i16_sdwa v126, sext(v126) dst_sel:DWORD dst_unused:UNUSED_PAD src0_sel:BYTE_0
	v_pack_b32_f16 v47, v47, v126
	v_lshrrev_b32_e32 v126, 16, v43
	v_cvt_f16_i16_sdwa v43, sext(v43) dst_sel:DWORD dst_unused:UNUSED_PAD src0_sel:BYTE_0
	v_pk_mul_f16 v47, v47, v44
	v_cvt_f16_i16_sdwa v126, sext(v126) dst_sel:DWORD dst_unused:UNUSED_PAD src0_sel:BYTE_0
	v_pack_b32_f16 v43, v43, v126
	v_pk_mul_f16 v43, v43, v44
	v_mul_u32_u24_sdwa v44, v45, v217 dst_sel:DWORD dst_unused:UNUSED_PAD src0_sel:WORD_0 src1_sel:DWORD
	v_pk_fma_f16 v126, v46, v44, v226
	v_pk_fma_f16 v127, v42, v44, v227
	;; [unrolled: 1-line block ×4, first 2 shown]
	v_mul_u32_u24_sdwa v44, v49, v217 dst_sel:DWORD dst_unused:UNUSED_PAD src0_sel:WORD_0 src1_sel:DWORD
	v_mul_u32_u24_sdwa v49, v49, v217 dst_sel:DWORD dst_unused:UNUSED_PAD src0_sel:WORD_1 src1_sel:DWORD
	v_pk_fma_f16 v227, v42, v44, v51
	v_add_co_u32 v42, vcc_lo, v230, v175
	v_pk_fma_f16 v226, v46, v44, v50
	v_pk_fma_f16 v228, v47, v44, v52
	;; [unrolled: 1-line block ×3, first 2 shown]
	v_add_co_ci_u32_e64 v43, null, 0, v231, vcc_lo
	v_add_co_u32 v44, vcc_lo, v232, v177
	v_mul_u32_u24_sdwa v46, v45, v217 dst_sel:DWORD dst_unused:UNUSED_PAD src0_sel:WORD_1 src1_sel:DWORD
	v_add_co_ci_u32_e64 v45, null, 0, v233, vcc_lo
	s_clause 0x1
	global_load_dword v42, v[42:43], off offset:2
	global_load_dword v43, v[44:45], off offset:2
	ds_write_b128 v135, v[126:129]
	ds_write_b128 v135, v[226:229] offset:16
	s_waitcnt vmcnt(1)
	v_pk_lshrrev_b16 v44, 8, v42 op_sel:[1,0] op_sel_hi:[0,0]
	v_pk_lshrrev_b16 v42, 8, v42 op_sel:[1,1] op_sel_hi:[0,1]
	v_lshrrev_b32_e32 v45, 16, v44
	v_cvt_f16_i16_sdwa v44, sext(v44) dst_sel:DWORD dst_unused:UNUSED_PAD src0_sel:BYTE_0
	v_cvt_f16_i16_sdwa v45, sext(v45) dst_sel:DWORD dst_unused:UNUSED_PAD src0_sel:BYTE_0
	v_pack_b32_f16 v44, v44, v45
	v_lshrrev_b32_e32 v45, 16, v42
	v_cvt_f16_i16_sdwa v42, sext(v42) dst_sel:DWORD dst_unused:UNUSED_PAD src0_sel:BYTE_0
	v_cvt_f16_i16_sdwa v45, sext(v45) dst_sel:DWORD dst_unused:UNUSED_PAD src0_sel:BYTE_0
	v_pack_b32_f16 v42, v42, v45
	v_mul_u32_u24_e32 v45, 0x10001, v234
	v_pk_mul_f16 v50, v42, v45
	s_waitcnt vmcnt(0)
	v_pk_lshrrev_b16 v42, 8, v43 op_sel:[1,0] op_sel_hi:[0,0]
	v_pk_mul_f16 v47, v44, v45
	v_pk_lshrrev_b16 v43, 8, v43 op_sel:[1,1] op_sel_hi:[0,1]
	v_lshrrev_b32_e32 v44, 16, v42
	v_cvt_f16_i16_sdwa v42, sext(v42) dst_sel:DWORD dst_unused:UNUSED_PAD src0_sel:BYTE_0
	v_cvt_f16_i16_sdwa v44, sext(v44) dst_sel:DWORD dst_unused:UNUSED_PAD src0_sel:BYTE_0
	v_pack_b32_f16 v42, v42, v44
	v_lshrrev_b32_e32 v44, 16, v43
	v_cvt_f16_i16_sdwa v43, sext(v43) dst_sel:DWORD dst_unused:UNUSED_PAD src0_sel:BYTE_0
	v_cvt_f16_i16_sdwa v44, sext(v44) dst_sel:DWORD dst_unused:UNUSED_PAD src0_sel:BYTE_0
	v_pack_b32_f16 v43, v43, v44
	v_mul_u32_u24_e32 v44, 0x10001, v48
	v_pk_mul_f16 v48, v42, v44
	v_pk_mul_f16 v51, v43, v44
	v_pk_fma_f16 v42, v47, v46, v126
	v_add_co_u32 v126, vcc_lo, s5, v146
	v_pk_fma_f16 v43, v50, v46, v127
	v_add_co_ci_u32_e64 v127, null, s11, v187, vcc_lo
	v_pk_fma_f16 v44, v48, v46, v128
	v_pk_fma_f16 v45, v51, v46, v129
	;; [unrolled: 1-line block ×4, first 2 shown]
	v_add_co_u32 v50, vcc_lo, v126, v223
	v_pk_fma_f16 v48, v48, v49, v228
	v_pk_fma_f16 v49, v51, v49, v229
	v_add_co_ci_u32_e64 v51, null, v127, v222, vcc_lo
	v_add_co_u32 v52, vcc_lo, v50, v175
	v_add_co_ci_u32_e64 v53, null, 0, v51, vcc_lo
	global_load_dword v228, v[52:53], off offset:2
	v_add_co_u32 v52, vcc_lo, v126, v225
	v_add_co_ci_u32_e64 v53, null, v127, v224, vcc_lo
	v_add_co_u32 v128, vcc_lo, s5, v147
	v_add_co_ci_u32_e64 v129, null, s11, v188, vcc_lo
	;; [unrolled: 2-line block ×5, first 2 shown]
	s_clause 0x4
	global_load_ushort v229, v[128:129], off
	global_load_ushort v230, v[126:127], off
	;; [unrolled: 1-line block ×4, first 2 shown]
	global_load_dword v51, v[226:227], off offset:2
	ds_write_b128 v135, v[42:45]
	ds_write_b128 v135, v[46:49] offset:16
	s_waitcnt vmcnt(5)
	v_pk_lshrrev_b16 v53, 8, v228 op_sel:[1,0] op_sel_hi:[0,0]
	v_lshrrev_b32_e32 v226, 16, v53
	v_cvt_f16_i16_sdwa v53, sext(v53) dst_sel:DWORD dst_unused:UNUSED_PAD src0_sel:BYTE_0
	v_cvt_f16_i16_sdwa v226, sext(v226) dst_sel:DWORD dst_unused:UNUSED_PAD src0_sel:BYTE_0
	v_pack_b32_f16 v53, v53, v226
	v_pk_lshrrev_b16 v226, 8, v228 op_sel:[1,1] op_sel_hi:[0,1]
	s_waitcnt vmcnt(2)
	v_mul_u32_u24_e32 v52, 0x10001, v52
	v_lshrrev_b32_e32 v227, 16, v226
	v_cvt_f16_i16_sdwa v226, sext(v226) dst_sel:DWORD dst_unused:UNUSED_PAD src0_sel:BYTE_0
	s_waitcnt vmcnt(1)
	v_mul_u32_u24_e32 v50, 0x10001, v50
	v_cvt_f16_i16_sdwa v227, sext(v227) dst_sel:DWORD dst_unused:UNUSED_PAD src0_sel:BYTE_0
	v_pack_b32_f16 v226, v226, v227
	v_pk_mul_f16 v227, v53, v50
	v_pk_mul_f16 v226, v226, v50
	s_waitcnt vmcnt(0)
	v_pk_lshrrev_b16 v50, 8, v51 op_sel:[1,0] op_sel_hi:[0,0]
	v_pk_lshrrev_b16 v51, 8, v51 op_sel:[1,1] op_sel_hi:[0,1]
	v_lshrrev_b32_e32 v53, 16, v50
	v_cvt_f16_i16_sdwa v50, sext(v50) dst_sel:DWORD dst_unused:UNUSED_PAD src0_sel:BYTE_0
	v_cvt_f16_i16_sdwa v53, sext(v53) dst_sel:DWORD dst_unused:UNUSED_PAD src0_sel:BYTE_0
	v_pack_b32_f16 v50, v50, v53
	v_lshrrev_b32_e32 v53, 16, v51
	v_cvt_f16_i16_sdwa v51, sext(v51) dst_sel:DWORD dst_unused:UNUSED_PAD src0_sel:BYTE_0
	v_pk_mul_f16 v228, v50, v52
	v_cvt_f16_i16_sdwa v53, sext(v53) dst_sel:DWORD dst_unused:UNUSED_PAD src0_sel:BYTE_0
	v_pack_b32_f16 v51, v51, v53
	v_mul_u32_u24_sdwa v53, v38, v217 dst_sel:DWORD dst_unused:UNUSED_PAD src0_sel:WORD_0 src1_sel:DWORD
	v_mul_u32_u24_sdwa v38, v38, v217 dst_sel:DWORD dst_unused:UNUSED_PAD src0_sel:WORD_1 src1_sel:DWORD
	v_pk_mul_f16 v231, v51, v52
	v_pk_fma_f16 v50, v227, v53, v42
	v_pk_fma_f16 v51, v226, v53, v43
	;; [unrolled: 1-line block ×4, first 2 shown]
	v_mul_u32_u24_sdwa v45, v34, v217 dst_sel:DWORD dst_unused:UNUSED_PAD src0_sel:WORD_0 src1_sel:DWORD
	v_mul_u32_u24_sdwa v34, v34, v217 dst_sel:DWORD dst_unused:UNUSED_PAD src0_sel:WORD_1 src1_sel:DWORD
	v_pk_fma_f16 v42, v227, v45, v46
	v_add_co_u32 v46, vcc_lo, v126, v175
	v_pk_fma_f16 v43, v226, v45, v47
	v_pk_fma_f16 v44, v228, v45, v48
	v_add_co_ci_u32_e64 v47, null, 0, v127, vcc_lo
	v_add_co_u32 v48, vcc_lo, v128, v177
	v_pk_fma_f16 v45, v231, v45, v49
	v_add_co_ci_u32_e64 v49, null, 0, v129, vcc_lo
	s_clause 0x1
	global_load_dword v46, v[46:47], off offset:2
	global_load_dword v47, v[48:49], off offset:2
	ds_write_b128 v135, v[50:53]
	ds_write_b128 v135, v[42:45] offset:16
	s_waitcnt vmcnt(1)
	v_pk_lshrrev_b16 v48, 8, v46 op_sel:[1,0] op_sel_hi:[0,0]
	v_pk_lshrrev_b16 v46, 8, v46 op_sel:[1,1] op_sel_hi:[0,1]
	v_lshrrev_b32_e32 v49, 16, v48
	v_cvt_f16_i16_sdwa v48, sext(v48) dst_sel:DWORD dst_unused:UNUSED_PAD src0_sel:BYTE_0
	v_cvt_f16_i16_sdwa v49, sext(v49) dst_sel:DWORD dst_unused:UNUSED_PAD src0_sel:BYTE_0
	v_pack_b32_f16 v48, v48, v49
	v_lshrrev_b32_e32 v49, 16, v46
	v_cvt_f16_i16_sdwa v46, sext(v46) dst_sel:DWORD dst_unused:UNUSED_PAD src0_sel:BYTE_0
	v_cvt_f16_i16_sdwa v49, sext(v49) dst_sel:DWORD dst_unused:UNUSED_PAD src0_sel:BYTE_0
	v_pack_b32_f16 v46, v46, v49
	v_mul_u32_u24_e32 v49, 0x10001, v230
	v_pk_mul_f16 v127, v46, v49
	s_waitcnt vmcnt(0)
	v_pk_lshrrev_b16 v46, 8, v47 op_sel:[1,0] op_sel_hi:[0,0]
	v_pk_mul_f16 v126, v48, v49
	v_pk_lshrrev_b16 v47, 8, v47 op_sel:[1,1] op_sel_hi:[0,1]
	v_lshrrev_b32_e32 v48, 16, v46
	v_cvt_f16_i16_sdwa v46, sext(v46) dst_sel:DWORD dst_unused:UNUSED_PAD src0_sel:BYTE_0
	v_cvt_f16_i16_sdwa v48, sext(v48) dst_sel:DWORD dst_unused:UNUSED_PAD src0_sel:BYTE_0
	v_pack_b32_f16 v46, v46, v48
	v_lshrrev_b32_e32 v48, 16, v47
	v_cvt_f16_i16_sdwa v47, sext(v47) dst_sel:DWORD dst_unused:UNUSED_PAD src0_sel:BYTE_0
	v_cvt_f16_i16_sdwa v48, sext(v48) dst_sel:DWORD dst_unused:UNUSED_PAD src0_sel:BYTE_0
	v_pack_b32_f16 v47, v47, v48
	v_mul_u32_u24_e32 v48, 0x10001, v229
	v_pk_mul_f16 v128, v46, v48
	v_pk_mul_f16 v129, v47, v48
	v_pk_fma_f16 v46, v126, v38, v50
	v_pk_fma_f16 v47, v127, v38, v51
	;; [unrolled: 1-line block ×8, first 2 shown]
	v_add_co_u32 v34, vcc_lo, s5, v148
	v_add_co_ci_u32_e64 v38, null, s11, v190, vcc_lo
	v_add_co_u32 v42, vcc_lo, v34, v223
	v_add_co_ci_u32_e64 v43, null, v38, v222, vcc_lo
	;; [unrolled: 2-line block ×3, first 2 shown]
	global_load_dword v228, v[44:45], off offset:2
	v_add_co_u32 v44, vcc_lo, v34, v225
	v_add_co_ci_u32_e64 v45, null, v38, v224, vcc_lo
	v_add_co_u32 v34, vcc_lo, s5, v149
	v_add_co_ci_u32_e64 v38, null, s11, v191, vcc_lo
	;; [unrolled: 2-line block ×5, first 2 shown]
	s_clause 0x4
	global_load_ushort v34, v[128:129], off
	global_load_ushort v38, v[126:127], off
	;; [unrolled: 1-line block ×4, first 2 shown]
	global_load_dword v43, v[226:227], off offset:2
	ds_write_b128 v135, v[46:49]
	ds_write_b128 v135, v[50:53] offset:16
	s_waitcnt vmcnt(5)
	v_pk_lshrrev_b16 v45, 8, v228 op_sel:[1,0] op_sel_hi:[0,0]
	v_lshrrev_b32_e32 v226, 16, v45
	v_cvt_f16_i16_sdwa v45, sext(v45) dst_sel:DWORD dst_unused:UNUSED_PAD src0_sel:BYTE_0
	v_cvt_f16_i16_sdwa v226, sext(v226) dst_sel:DWORD dst_unused:UNUSED_PAD src0_sel:BYTE_0
	v_pack_b32_f16 v45, v45, v226
	v_pk_lshrrev_b16 v226, 8, v228 op_sel:[1,1] op_sel_hi:[0,1]
	s_waitcnt vmcnt(4)
	v_mul_u32_u24_e32 v34, 0x10001, v34
	s_waitcnt vmcnt(3)
	v_mul_u32_u24_e32 v38, 0x10001, v38
	;; [unrolled: 2-line block ×3, first 2 shown]
	v_lshrrev_b32_e32 v227, 16, v226
	v_cvt_f16_i16_sdwa v226, sext(v226) dst_sel:DWORD dst_unused:UNUSED_PAD src0_sel:BYTE_0
	s_waitcnt vmcnt(1)
	v_mul_u32_u24_e32 v42, 0x10001, v42
	v_cvt_f16_i16_sdwa v227, sext(v227) dst_sel:DWORD dst_unused:UNUSED_PAD src0_sel:BYTE_0
	v_pack_b32_f16 v226, v226, v227
	v_pk_mul_f16 v227, v45, v42
	v_pk_mul_f16 v226, v226, v42
	s_waitcnt vmcnt(0)
	v_pk_lshrrev_b16 v42, 8, v43 op_sel:[1,0] op_sel_hi:[0,0]
	v_pk_lshrrev_b16 v43, 8, v43 op_sel:[1,1] op_sel_hi:[0,1]
	v_lshrrev_b32_e32 v45, 16, v42
	v_cvt_f16_i16_sdwa v42, sext(v42) dst_sel:DWORD dst_unused:UNUSED_PAD src0_sel:BYTE_0
	v_cvt_f16_i16_sdwa v45, sext(v45) dst_sel:DWORD dst_unused:UNUSED_PAD src0_sel:BYTE_0
	v_pack_b32_f16 v42, v42, v45
	v_lshrrev_b32_e32 v45, 16, v43
	v_cvt_f16_i16_sdwa v43, sext(v43) dst_sel:DWORD dst_unused:UNUSED_PAD src0_sel:BYTE_0
	v_pk_mul_f16 v228, v42, v44
	v_cvt_f16_i16_sdwa v45, sext(v45) dst_sel:DWORD dst_unused:UNUSED_PAD src0_sel:BYTE_0
	v_pack_b32_f16 v43, v43, v45
	v_mul_u32_u24_sdwa v45, v39, v217 dst_sel:DWORD dst_unused:UNUSED_PAD src0_sel:WORD_0 src1_sel:DWORD
	v_mul_u32_u24_sdwa v39, v39, v217 dst_sel:DWORD dst_unused:UNUSED_PAD src0_sel:WORD_1 src1_sel:DWORD
	v_pk_mul_f16 v229, v43, v44
	v_pk_fma_f16 v42, v227, v45, v46
	v_pk_fma_f16 v43, v226, v45, v47
	v_pk_fma_f16 v44, v228, v45, v48
	v_pk_fma_f16 v45, v229, v45, v49
	v_mul_u32_u24_sdwa v49, v35, v217 dst_sel:DWORD dst_unused:UNUSED_PAD src0_sel:WORD_0 src1_sel:DWORD
	v_mul_u32_u24_sdwa v35, v35, v217 dst_sel:DWORD dst_unused:UNUSED_PAD src0_sel:WORD_1 src1_sel:DWORD
	v_pk_fma_f16 v46, v227, v49, v50
	v_add_co_u32 v50, vcc_lo, v126, v175
	v_pk_fma_f16 v47, v226, v49, v51
	v_pk_fma_f16 v48, v228, v49, v52
	v_add_co_ci_u32_e64 v51, null, 0, v127, vcc_lo
	v_add_co_u32 v52, vcc_lo, v128, v177
	v_pk_fma_f16 v49, v229, v49, v53
	v_add_co_ci_u32_e64 v53, null, 0, v129, vcc_lo
	s_clause 0x1
	global_load_dword v50, v[50:51], off offset:2
	global_load_dword v51, v[52:53], off offset:2
	ds_write_b128 v135, v[42:45]
	ds_write_b128 v135, v[46:49] offset:16
	s_waitcnt vmcnt(1)
	v_pk_lshrrev_b16 v52, 8, v50 op_sel:[1,0] op_sel_hi:[0,0]
	v_pk_lshrrev_b16 v50, 8, v50 op_sel:[1,1] op_sel_hi:[0,1]
	v_lshrrev_b32_e32 v53, 16, v52
	v_cvt_f16_i16_sdwa v52, sext(v52) dst_sel:DWORD dst_unused:UNUSED_PAD src0_sel:BYTE_0
	v_cvt_f16_i16_sdwa v53, sext(v53) dst_sel:DWORD dst_unused:UNUSED_PAD src0_sel:BYTE_0
	v_pack_b32_f16 v52, v52, v53
	v_lshrrev_b32_e32 v53, 16, v50
	v_cvt_f16_i16_sdwa v50, sext(v50) dst_sel:DWORD dst_unused:UNUSED_PAD src0_sel:BYTE_0
	v_pk_mul_f16 v126, v52, v38
	v_cvt_f16_i16_sdwa v53, sext(v53) dst_sel:DWORD dst_unused:UNUSED_PAD src0_sel:BYTE_0
	v_pack_b32_f16 v50, v50, v53
	v_pk_mul_f16 v38, v50, v38
	s_waitcnt vmcnt(0)
	v_pk_lshrrev_b16 v50, 8, v51 op_sel:[1,0] op_sel_hi:[0,0]
	v_pk_lshrrev_b16 v51, 8, v51 op_sel:[1,1] op_sel_hi:[0,1]
	v_lshrrev_b32_e32 v52, 16, v50
	v_cvt_f16_i16_sdwa v50, sext(v50) dst_sel:DWORD dst_unused:UNUSED_PAD src0_sel:BYTE_0
	v_cvt_f16_i16_sdwa v52, sext(v52) dst_sel:DWORD dst_unused:UNUSED_PAD src0_sel:BYTE_0
	v_pack_b32_f16 v50, v50, v52
	v_lshrrev_b32_e32 v52, 16, v51
	v_cvt_f16_i16_sdwa v51, sext(v51) dst_sel:DWORD dst_unused:UNUSED_PAD src0_sel:BYTE_0
	v_pk_mul_f16 v127, v50, v34
	v_cvt_f16_i16_sdwa v52, sext(v52) dst_sel:DWORD dst_unused:UNUSED_PAD src0_sel:BYTE_0
	v_pk_fma_f16 v50, v126, v39, v42
	v_pk_fma_f16 v42, v126, v35, v46
	v_add_co_u32 v46, vcc_lo, s5, v150
	v_pack_b32_f16 v51, v51, v52
	v_pk_fma_f16 v52, v127, v39, v44
	v_pk_fma_f16 v44, v127, v35, v48
	v_pk_mul_f16 v34, v51, v34
	v_pk_fma_f16 v51, v38, v39, v43
	v_pk_fma_f16 v43, v38, v35, v47
	v_add_co_ci_u32_e64 v47, null, s11, v192, vcc_lo
	v_pk_fma_f16 v53, v34, v39, v45
	v_pk_fma_f16 v45, v34, v35, v49
	v_add_co_u32 v34, vcc_lo, v46, v223
	v_add_co_ci_u32_e64 v35, null, v47, v222, vcc_lo
	v_add_co_u32 v38, vcc_lo, v34, v175
	v_add_co_ci_u32_e64 v39, null, 0, v35, vcc_lo
	global_load_dword v48, v[38:39], off offset:2
	v_add_co_u32 v38, vcc_lo, v46, v225
	v_add_co_ci_u32_e64 v39, null, v47, v224, vcc_lo
	v_add_co_u32 v46, vcc_lo, s5, v152
	v_add_co_ci_u32_e64 v47, null, s11, v193, vcc_lo
	;; [unrolled: 2-line block ×5, first 2 shown]
	s_clause 0x4
	global_load_ushort v226, v[128:129], off
	global_load_ushort v227, v[126:127], off
	global_load_ushort v38, v[38:39], off
	global_load_ushort v34, v[34:35], off
	global_load_dword v35, v[46:47], off offset:2
	ds_write_b128 v135, v[50:53]
	ds_write_b128 v135, v[42:45] offset:16
	s_waitcnt vmcnt(5)
	v_pk_lshrrev_b16 v39, 8, v48 op_sel:[1,0] op_sel_hi:[0,0]
	v_lshrrev_b32_e32 v46, 16, v39
	v_cvt_f16_i16_sdwa v39, sext(v39) dst_sel:DWORD dst_unused:UNUSED_PAD src0_sel:BYTE_0
	v_cvt_f16_i16_sdwa v46, sext(v46) dst_sel:DWORD dst_unused:UNUSED_PAD src0_sel:BYTE_0
	v_pack_b32_f16 v39, v39, v46
	v_pk_lshrrev_b16 v46, 8, v48 op_sel:[1,1] op_sel_hi:[0,1]
	s_waitcnt vmcnt(2)
	v_mul_u32_u24_e32 v38, 0x10001, v38
	v_lshrrev_b32_e32 v47, 16, v46
	v_cvt_f16_i16_sdwa v46, sext(v46) dst_sel:DWORD dst_unused:UNUSED_PAD src0_sel:BYTE_0
	s_waitcnt vmcnt(1)
	v_mul_u32_u24_e32 v34, 0x10001, v34
	v_cvt_f16_i16_sdwa v47, sext(v47) dst_sel:DWORD dst_unused:UNUSED_PAD src0_sel:BYTE_0
	v_pk_mul_f16 v39, v39, v34
	v_pack_b32_f16 v46, v46, v47
	v_pk_mul_f16 v34, v46, v34
	s_waitcnt vmcnt(0)
	v_pk_lshrrev_b16 v46, 8, v35 op_sel:[1,0] op_sel_hi:[0,0]
	v_pk_lshrrev_b16 v35, 8, v35 op_sel:[1,1] op_sel_hi:[0,1]
	v_lshrrev_b32_e32 v47, 16, v46
	v_cvt_f16_i16_sdwa v46, sext(v46) dst_sel:DWORD dst_unused:UNUSED_PAD src0_sel:BYTE_0
	v_cvt_f16_i16_sdwa v47, sext(v47) dst_sel:DWORD dst_unused:UNUSED_PAD src0_sel:BYTE_0
	v_pack_b32_f16 v46, v46, v47
	v_lshrrev_b32_e32 v47, 16, v35
	v_cvt_f16_i16_sdwa v35, sext(v35) dst_sel:DWORD dst_unused:UNUSED_PAD src0_sel:BYTE_0
	v_pk_mul_f16 v228, v46, v38
	v_cvt_f16_i16_sdwa v47, sext(v47) dst_sel:DWORD dst_unused:UNUSED_PAD src0_sel:BYTE_0
	v_pack_b32_f16 v35, v35, v47
	v_pk_mul_f16 v35, v35, v38
	v_mul_u32_u24_sdwa v38, v40, v217 dst_sel:DWORD dst_unused:UNUSED_PAD src0_sel:WORD_0 src1_sel:DWORD
	v_mul_u32_u24_sdwa v40, v40, v217 dst_sel:DWORD dst_unused:UNUSED_PAD src0_sel:WORD_1 src1_sel:DWORD
	v_pk_fma_f16 v46, v39, v38, v50
	v_pk_fma_f16 v47, v34, v38, v51
	;; [unrolled: 1-line block ×4, first 2 shown]
	v_mul_u32_u24_sdwa v38, v36, v217 dst_sel:DWORD dst_unused:UNUSED_PAD src0_sel:WORD_0 src1_sel:DWORD
	v_mul_u32_u24_sdwa v36, v36, v217 dst_sel:DWORD dst_unused:UNUSED_PAD src0_sel:WORD_1 src1_sel:DWORD
	v_pk_fma_f16 v51, v34, v38, v43
	v_add_co_u32 v34, vcc_lo, v126, v175
	v_pk_fma_f16 v50, v39, v38, v42
	v_pk_fma_f16 v52, v228, v38, v44
	;; [unrolled: 1-line block ×3, first 2 shown]
	v_add_co_ci_u32_e64 v35, null, 0, v127, vcc_lo
	v_add_co_u32 v38, vcc_lo, v128, v177
	v_add_co_ci_u32_e64 v39, null, 0, v129, vcc_lo
	s_clause 0x1
	global_load_dword v34, v[34:35], off offset:2
	global_load_dword v35, v[38:39], off offset:2
	ds_write_b128 v135, v[46:49]
	ds_write_b128 v135, v[50:53] offset:16
	s_waitcnt vmcnt(1)
	v_pk_lshrrev_b16 v38, 8, v34 op_sel:[1,0] op_sel_hi:[0,0]
	v_pk_lshrrev_b16 v34, 8, v34 op_sel:[1,1] op_sel_hi:[0,1]
	v_lshrrev_b32_e32 v39, 16, v38
	v_cvt_f16_i16_sdwa v38, sext(v38) dst_sel:DWORD dst_unused:UNUSED_PAD src0_sel:BYTE_0
	v_cvt_f16_i16_sdwa v39, sext(v39) dst_sel:DWORD dst_unused:UNUSED_PAD src0_sel:BYTE_0
	v_pack_b32_f16 v38, v38, v39
	v_lshrrev_b32_e32 v39, 16, v34
	v_cvt_f16_i16_sdwa v34, sext(v34) dst_sel:DWORD dst_unused:UNUSED_PAD src0_sel:BYTE_0
	v_cvt_f16_i16_sdwa v39, sext(v39) dst_sel:DWORD dst_unused:UNUSED_PAD src0_sel:BYTE_0
	v_pack_b32_f16 v34, v34, v39
	v_mul_u32_u24_e32 v39, 0x10001, v227
	v_pk_mul_f16 v38, v38, v39
	v_pk_mul_f16 v34, v34, v39
	s_waitcnt vmcnt(0)
	v_pk_lshrrev_b16 v39, 8, v35 op_sel:[1,0] op_sel_hi:[0,0]
	v_pk_lshrrev_b16 v35, 8, v35 op_sel:[1,1] op_sel_hi:[0,1]
	v_pk_fma_f16 v43, v34, v40, v47
	v_lshrrev_b32_e32 v42, 16, v39
	v_cvt_f16_i16_sdwa v39, sext(v39) dst_sel:DWORD dst_unused:UNUSED_PAD src0_sel:BYTE_0
	v_pk_fma_f16 v47, v34, v36, v51
	v_cvt_f16_i16_sdwa v42, sext(v42) dst_sel:DWORD dst_unused:UNUSED_PAD src0_sel:BYTE_0
	v_pack_b32_f16 v39, v39, v42
	v_lshrrev_b32_e32 v42, 16, v35
	v_cvt_f16_i16_sdwa v35, sext(v35) dst_sel:DWORD dst_unused:UNUSED_PAD src0_sel:BYTE_0
	v_cvt_f16_i16_sdwa v42, sext(v42) dst_sel:DWORD dst_unused:UNUSED_PAD src0_sel:BYTE_0
	v_pack_b32_f16 v35, v35, v42
	v_mul_u32_u24_e32 v42, 0x10001, v226
	v_pk_mul_f16 v39, v39, v42
	v_pk_mul_f16 v35, v35, v42
	v_pk_fma_f16 v42, v38, v40, v46
	v_pk_fma_f16 v46, v38, v36, v50
	;; [unrolled: 1-line block ×6, first 2 shown]
	v_add_co_u32 v36, vcc_lo, s5, v154
	v_add_co_ci_u32_e64 v40, null, s11, v195, vcc_lo
	v_add_co_u32 v34, vcc_lo, v36, v223
	v_add_co_ci_u32_e64 v35, null, v40, v222, vcc_lo
	v_add_co_u32 v38, vcc_lo, v34, v175
	v_add_co_ci_u32_e64 v39, null, 0, v35, vcc_lo
	global_load_dword v52, v[38:39], off offset:2
	v_add_co_u32 v38, vcc_lo, v36, v225
	v_add_co_ci_u32_e64 v39, null, v40, v224, vcc_lo
	v_add_co_u32 v36, vcc_lo, s5, v156
	v_add_co_ci_u32_e64 v40, null, s11, v196, vcc_lo
	v_add_co_u32 v226, vcc_lo, v36, v223
	v_add_co_ci_u32_e64 v227, null, v40, v222, vcc_lo
	v_add_co_u32 v228, vcc_lo, v36, v225
	v_add_co_ci_u32_e64 v229, null, v40, v224, vcc_lo
	v_add_co_u32 v50, vcc_lo, v38, v177
	v_add_co_ci_u32_e64 v51, null, 0, v39, vcc_lo
	s_clause 0x4
	global_load_ushort v36, v[228:229], off
	global_load_ushort v40, v[226:227], off
	global_load_ushort v38, v[38:39], off
	global_load_ushort v34, v[34:35], off
	global_load_dword v35, v[50:51], off offset:2
	ds_write_b128 v135, v[42:45]
	ds_write_b128 v135, v[46:49] offset:16
	s_waitcnt vmcnt(5)
	v_pk_lshrrev_b16 v39, 8, v52 op_sel:[1,0] op_sel_hi:[0,0]
	v_lshrrev_b32_e32 v50, 16, v39
	v_cvt_f16_i16_sdwa v39, sext(v39) dst_sel:DWORD dst_unused:UNUSED_PAD src0_sel:BYTE_0
	v_cvt_f16_i16_sdwa v50, sext(v50) dst_sel:DWORD dst_unused:UNUSED_PAD src0_sel:BYTE_0
	v_pack_b32_f16 v39, v39, v50
	v_pk_lshrrev_b16 v50, 8, v52 op_sel:[1,1] op_sel_hi:[0,1]
	s_waitcnt vmcnt(4)
	v_mul_u32_u24_e32 v36, 0x10001, v36
	s_waitcnt vmcnt(2)
	v_mul_u32_u24_e32 v38, 0x10001, v38
	v_lshrrev_b32_e32 v51, 16, v50
	v_cvt_f16_i16_sdwa v50, sext(v50) dst_sel:DWORD dst_unused:UNUSED_PAD src0_sel:BYTE_0
	s_waitcnt vmcnt(1)
	v_mul_u32_u24_e32 v34, 0x10001, v34
	v_cvt_f16_i16_sdwa v51, sext(v51) dst_sel:DWORD dst_unused:UNUSED_PAD src0_sel:BYTE_0
	v_pk_mul_f16 v39, v39, v34
	v_pack_b32_f16 v50, v50, v51
	v_pk_mul_f16 v34, v50, v34
	s_waitcnt vmcnt(0)
	v_pk_lshrrev_b16 v50, 8, v35 op_sel:[1,0] op_sel_hi:[0,0]
	v_pk_lshrrev_b16 v35, 8, v35 op_sel:[1,1] op_sel_hi:[0,1]
	v_lshrrev_b32_e32 v51, 16, v50
	v_cvt_f16_i16_sdwa v50, sext(v50) dst_sel:DWORD dst_unused:UNUSED_PAD src0_sel:BYTE_0
	v_cvt_f16_i16_sdwa v51, sext(v51) dst_sel:DWORD dst_unused:UNUSED_PAD src0_sel:BYTE_0
	v_pack_b32_f16 v50, v50, v51
	v_lshrrev_b32_e32 v51, 16, v35
	v_cvt_f16_i16_sdwa v35, sext(v35) dst_sel:DWORD dst_unused:UNUSED_PAD src0_sel:BYTE_0
	v_pk_mul_f16 v128, v50, v38
	v_cvt_f16_i16_sdwa v51, sext(v51) dst_sel:DWORD dst_unused:UNUSED_PAD src0_sel:BYTE_0
	v_pack_b32_f16 v35, v35, v51
	v_pk_mul_f16 v35, v35, v38
	v_mul_u32_u24_sdwa v38, v41, v217 dst_sel:DWORD dst_unused:UNUSED_PAD src0_sel:WORD_0 src1_sel:DWORD
	v_mul_u32_u24_sdwa v41, v41, v217 dst_sel:DWORD dst_unused:UNUSED_PAD src0_sel:WORD_1 src1_sel:DWORD
	v_pk_fma_f16 v50, v39, v38, v42
	v_pk_fma_f16 v51, v34, v38, v43
	;; [unrolled: 1-line block ×4, first 2 shown]
	v_mul_u32_u24_sdwa v38, v37, v217 dst_sel:DWORD dst_unused:UNUSED_PAD src0_sel:WORD_0 src1_sel:DWORD
	v_pk_fma_f16 v127, v34, v38, v47
	v_add_co_u32 v34, vcc_lo, v226, v175
	v_pk_fma_f16 v126, v39, v38, v46
	v_pk_fma_f16 v128, v128, v38, v48
	;; [unrolled: 1-line block ×3, first 2 shown]
	v_add_co_ci_u32_e64 v35, null, 0, v227, vcc_lo
	v_add_co_u32 v38, vcc_lo, v228, v177
	v_add_co_ci_u32_e64 v39, null, 0, v229, vcc_lo
	s_clause 0x1
	global_load_dword v34, v[34:35], off offset:2
	global_load_dword v35, v[38:39], off offset:2
	v_add_co_u32 v46, vcc_lo, s5, v158
	v_add_co_ci_u32_e64 v47, null, s11, v197, vcc_lo
	ds_write_b128 v135, v[126:129] offset:16
	ds_write_b128 v135, v[50:53]
	s_waitcnt vmcnt(1)
	v_pk_lshrrev_b16 v38, 8, v34 op_sel:[1,0] op_sel_hi:[0,0]
	v_pk_lshrrev_b16 v34, 8, v34 op_sel:[1,1] op_sel_hi:[0,1]
	v_lshrrev_b32_e32 v39, 16, v38
	v_cvt_f16_i16_sdwa v38, sext(v38) dst_sel:DWORD dst_unused:UNUSED_PAD src0_sel:BYTE_0
	v_cvt_f16_i16_sdwa v39, sext(v39) dst_sel:DWORD dst_unused:UNUSED_PAD src0_sel:BYTE_0
	v_pack_b32_f16 v38, v38, v39
	v_lshrrev_b32_e32 v39, 16, v34
	v_cvt_f16_i16_sdwa v34, sext(v34) dst_sel:DWORD dst_unused:UNUSED_PAD src0_sel:BYTE_0
	v_cvt_f16_i16_sdwa v39, sext(v39) dst_sel:DWORD dst_unused:UNUSED_PAD src0_sel:BYTE_0
	v_pack_b32_f16 v34, v34, v39
	v_mul_u32_u24_e32 v39, 0x10001, v40
	v_pk_mul_f16 v38, v38, v39
	v_pk_mul_f16 v34, v34, v39
	s_waitcnt vmcnt(0)
	v_pk_lshrrev_b16 v39, 8, v35 op_sel:[1,0] op_sel_hi:[0,0]
	v_pk_lshrrev_b16 v35, 8, v35 op_sel:[1,1] op_sel_hi:[0,1]
	v_pk_fma_f16 v42, v38, v41, v50
	v_pk_fma_f16 v43, v34, v41, v51
	v_lshrrev_b32_e32 v40, 16, v39
	v_cvt_f16_i16_sdwa v39, sext(v39) dst_sel:DWORD dst_unused:UNUSED_PAD src0_sel:BYTE_0
	v_cvt_f16_i16_sdwa v40, sext(v40) dst_sel:DWORD dst_unused:UNUSED_PAD src0_sel:BYTE_0
	v_pack_b32_f16 v39, v39, v40
	v_lshrrev_b32_e32 v40, 16, v35
	v_cvt_f16_i16_sdwa v35, sext(v35) dst_sel:DWORD dst_unused:UNUSED_PAD src0_sel:BYTE_0
	v_cvt_f16_i16_sdwa v40, sext(v40) dst_sel:DWORD dst_unused:UNUSED_PAD src0_sel:BYTE_0
	v_pack_b32_f16 v35, v35, v40
	v_pk_mul_f16 v40, v39, v36
	v_pk_mul_f16 v35, v35, v36
	v_mul_u32_u24_sdwa v36, v37, v217 dst_sel:DWORD dst_unused:UNUSED_PAD src0_sel:WORD_1 src1_sel:DWORD
	v_pk_fma_f16 v44, v40, v41, v52
	v_pk_fma_f16 v45, v35, v41, v53
	;; [unrolled: 1-line block ×3, first 2 shown]
	v_add_co_u32 v34, vcc_lo, v46, v223
	v_pk_fma_f16 v41, v35, v36, v129
	v_add_co_ci_u32_e64 v35, null, v47, v222, vcc_lo
	v_pk_fma_f16 v38, v38, v36, v126
	v_pk_fma_f16 v40, v40, v36, v128
	v_add_co_u32 v36, vcc_lo, v34, v175
	v_add_co_ci_u32_e64 v37, null, 0, v35, vcc_lo
	global_load_dword v48, v[36:37], off offset:2
	v_add_co_u32 v36, vcc_lo, v46, v225
	v_add_co_ci_u32_e64 v37, null, v47, v224, vcc_lo
	v_add_co_u32 v46, vcc_lo, s5, v160
	v_add_co_ci_u32_e64 v47, null, s11, v198, vcc_lo
	;; [unrolled: 2-line block ×5, first 2 shown]
	s_clause 0x4
	global_load_ushort v226, v[128:129], off
	global_load_ushort v227, v[126:127], off
	;; [unrolled: 1-line block ×4, first 2 shown]
	global_load_dword v35, v[46:47], off offset:2
	s_waitcnt vmcnt(5)
	v_pk_lshrrev_b16 v37, 8, v48 op_sel:[1,0] op_sel_hi:[0,0]
	v_lshrrev_b32_e32 v46, 16, v37
	v_cvt_f16_i16_sdwa v37, sext(v37) dst_sel:DWORD dst_unused:UNUSED_PAD src0_sel:BYTE_0
	v_cvt_f16_i16_sdwa v46, sext(v46) dst_sel:DWORD dst_unused:UNUSED_PAD src0_sel:BYTE_0
	v_pack_b32_f16 v37, v37, v46
	v_pk_lshrrev_b16 v46, 8, v48 op_sel:[1,1] op_sel_hi:[0,1]
	s_waitcnt vmcnt(2)
	v_mul_u32_u24_e32 v36, 0x10001, v36
	v_lshrrev_b32_e32 v47, 16, v46
	v_cvt_f16_i16_sdwa v46, sext(v46) dst_sel:DWORD dst_unused:UNUSED_PAD src0_sel:BYTE_0
	s_waitcnt vmcnt(1)
	v_mul_u32_u24_e32 v34, 0x10001, v34
	v_cvt_f16_i16_sdwa v47, sext(v47) dst_sel:DWORD dst_unused:UNUSED_PAD src0_sel:BYTE_0
	v_pk_mul_f16 v228, v37, v34
	v_pack_b32_f16 v46, v46, v47
	v_pk_mul_f16 v229, v46, v34
	s_waitcnt vmcnt(0)
	v_pk_lshrrev_b16 v34, 8, v35 op_sel:[1,0] op_sel_hi:[0,0]
	v_pk_lshrrev_b16 v35, 8, v35 op_sel:[1,1] op_sel_hi:[0,1]
	ds_read_b128 v[46:49], v171 offset:32
	ds_read_b128 v[50:53], v171 offset:48
	ds_write_b128 v135, v[42:45]
	v_lshrrev_b32_e32 v37, 16, v34
	v_cvt_f16_i16_sdwa v34, sext(v34) dst_sel:DWORD dst_unused:UNUSED_PAD src0_sel:BYTE_0
	v_cvt_f16_i16_sdwa v37, sext(v37) dst_sel:DWORD dst_unused:UNUSED_PAD src0_sel:BYTE_0
	v_pack_b32_f16 v34, v34, v37
	v_lshrrev_b32_e32 v37, 16, v35
	v_cvt_f16_i16_sdwa v35, sext(v35) dst_sel:DWORD dst_unused:UNUSED_PAD src0_sel:BYTE_0
	v_pk_mul_f16 v230, v34, v36
	v_cvt_f16_i16_sdwa v37, sext(v37) dst_sel:DWORD dst_unused:UNUSED_PAD src0_sel:BYTE_0
	s_waitcnt lgkmcnt(2)
	v_mul_u32_u24_sdwa v34, v46, v217 dst_sel:DWORD dst_unused:UNUSED_PAD src0_sel:WORD_0 src1_sel:DWORD
	v_pack_b32_f16 v35, v35, v37
	v_pk_fma_f16 v232, v228, v34, v42
	v_pk_fma_f16 v233, v229, v34, v43
	;; [unrolled: 1-line block ×3, first 2 shown]
	v_pk_mul_f16 v231, v35, v36
	v_pk_fma_f16 v235, v231, v34, v45
	ds_read_b128 v[42:45], v171 offset:288
	ds_read_b128 v[34:37], v171 offset:304
	ds_write_b128 v135, v[38:41] offset:16
	s_waitcnt lgkmcnt(2)
	v_mul_u32_u24_sdwa v236, v42, v217 dst_sel:DWORD dst_unused:UNUSED_PAD src0_sel:WORD_0 src1_sel:DWORD
	v_mul_u32_u24_sdwa v42, v42, v217 dst_sel:DWORD dst_unused:UNUSED_PAD src0_sel:WORD_1 src1_sel:DWORD
	v_pk_fma_f16 v228, v228, v236, v38
	v_add_co_u32 v38, vcc_lo, v126, v175
	v_pk_fma_f16 v229, v229, v236, v39
	v_pk_fma_f16 v230, v230, v236, v40
	v_add_co_ci_u32_e64 v39, null, 0, v127, vcc_lo
	v_add_co_u32 v40, vcc_lo, v128, v177
	v_pk_fma_f16 v231, v231, v236, v41
	v_add_co_ci_u32_e64 v41, null, 0, v129, vcc_lo
	s_clause 0x1
	global_load_dword v38, v[38:39], off offset:2
	global_load_dword v39, v[40:41], off offset:2
	ds_write_b128 v135, v[228:231] offset:16
	ds_write_b128 v135, v[232:235]
	s_waitcnt vmcnt(1)
	v_pk_lshrrev_b16 v40, 8, v38 op_sel:[1,0] op_sel_hi:[0,0]
	v_pk_lshrrev_b16 v38, 8, v38 op_sel:[1,1] op_sel_hi:[0,1]
	v_lshrrev_b32_e32 v41, 16, v40
	v_cvt_f16_i16_sdwa v40, sext(v40) dst_sel:DWORD dst_unused:UNUSED_PAD src0_sel:BYTE_0
	v_cvt_f16_i16_sdwa v41, sext(v41) dst_sel:DWORD dst_unused:UNUSED_PAD src0_sel:BYTE_0
	v_pack_b32_f16 v40, v40, v41
	v_lshrrev_b32_e32 v41, 16, v38
	v_cvt_f16_i16_sdwa v38, sext(v38) dst_sel:DWORD dst_unused:UNUSED_PAD src0_sel:BYTE_0
	v_cvt_f16_i16_sdwa v41, sext(v41) dst_sel:DWORD dst_unused:UNUSED_PAD src0_sel:BYTE_0
	v_pack_b32_f16 v38, v38, v41
	v_mul_u32_u24_e32 v41, 0x10001, v227
	v_pk_mul_f16 v127, v38, v41
	s_waitcnt vmcnt(0)
	v_pk_lshrrev_b16 v38, 8, v39 op_sel:[1,0] op_sel_hi:[0,0]
	v_pk_mul_f16 v126, v40, v41
	v_pk_lshrrev_b16 v39, 8, v39 op_sel:[1,1] op_sel_hi:[0,1]
	v_mul_u32_u24_sdwa v41, v46, v217 dst_sel:DWORD dst_unused:UNUSED_PAD src0_sel:WORD_1 src1_sel:DWORD
	v_lshrrev_b32_e32 v40, 16, v38
	v_cvt_f16_i16_sdwa v38, sext(v38) dst_sel:DWORD dst_unused:UNUSED_PAD src0_sel:BYTE_0
	v_cvt_f16_i16_sdwa v40, sext(v40) dst_sel:DWORD dst_unused:UNUSED_PAD src0_sel:BYTE_0
	v_pack_b32_f16 v38, v38, v40
	v_lshrrev_b32_e32 v40, 16, v39
	v_cvt_f16_i16_sdwa v39, sext(v39) dst_sel:DWORD dst_unused:UNUSED_PAD src0_sel:BYTE_0
	v_cvt_f16_i16_sdwa v40, sext(v40) dst_sel:DWORD dst_unused:UNUSED_PAD src0_sel:BYTE_0
	v_pack_b32_f16 v39, v39, v40
	v_mul_u32_u24_e32 v40, 0x10001, v226
	v_pk_mul_f16 v128, v38, v40
	v_pk_mul_f16 v129, v39, v40
	v_pk_fma_f16 v38, v126, v41, v232
	v_pk_fma_f16 v39, v127, v41, v233
	;; [unrolled: 1-line block ×8, first 2 shown]
	v_add_co_u32 v42, vcc_lo, s5, v162
	v_add_co_ci_u32_e64 v46, null, s11, v200, vcc_lo
	v_add_co_u32 v226, vcc_lo, v42, v223
	v_add_co_ci_u32_e64 v227, null, v46, v222, vcc_lo
	;; [unrolled: 2-line block ×3, first 2 shown]
	global_load_dword v236, v[228:229], off offset:2
	v_add_co_u32 v228, vcc_lo, v42, v225
	v_add_co_ci_u32_e64 v229, null, v46, v224, vcc_lo
	v_add_co_u32 v42, vcc_lo, s5, v163
	v_add_co_ci_u32_e64 v46, null, s11, v201, vcc_lo
	;; [unrolled: 2-line block ×5, first 2 shown]
	s_clause 0x4
	global_load_ushort v42, v[232:233], off
	global_load_ushort v46, v[230:231], off
	;; [unrolled: 1-line block ×4, first 2 shown]
	global_load_dword v227, v[234:235], off offset:2
	ds_write_b128 v135, v[38:41]
	ds_write_b128 v135, v[126:129] offset:16
	s_waitcnt vmcnt(5)
	v_pk_lshrrev_b16 v229, 8, v236 op_sel:[1,0] op_sel_hi:[0,0]
	v_lshrrev_b32_e32 v234, 16, v229
	v_cvt_f16_i16_sdwa v229, sext(v229) dst_sel:DWORD dst_unused:UNUSED_PAD src0_sel:BYTE_0
	v_cvt_f16_i16_sdwa v234, sext(v234) dst_sel:DWORD dst_unused:UNUSED_PAD src0_sel:BYTE_0
	v_pack_b32_f16 v229, v229, v234
	v_pk_lshrrev_b16 v234, 8, v236 op_sel:[1,1] op_sel_hi:[0,1]
	s_waitcnt vmcnt(4)
	v_mul_u32_u24_e32 v42, 0x10001, v42
	s_waitcnt vmcnt(3)
	v_mul_u32_u24_e32 v46, 0x10001, v46
	;; [unrolled: 2-line block ×3, first 2 shown]
	v_lshrrev_b32_e32 v235, 16, v234
	v_cvt_f16_i16_sdwa v234, sext(v234) dst_sel:DWORD dst_unused:UNUSED_PAD src0_sel:BYTE_0
	s_waitcnt vmcnt(1)
	v_mul_u32_u24_e32 v226, 0x10001, v226
	v_cvt_f16_i16_sdwa v235, sext(v235) dst_sel:DWORD dst_unused:UNUSED_PAD src0_sel:BYTE_0
	v_pack_b32_f16 v234, v234, v235
	v_pk_mul_f16 v235, v229, v226
	v_pk_mul_f16 v234, v234, v226
	s_waitcnt vmcnt(0)
	v_pk_lshrrev_b16 v226, 8, v227 op_sel:[1,0] op_sel_hi:[0,0]
	v_pk_lshrrev_b16 v227, 8, v227 op_sel:[1,1] op_sel_hi:[0,1]
	v_lshrrev_b32_e32 v229, 16, v226
	v_cvt_f16_i16_sdwa v226, sext(v226) dst_sel:DWORD dst_unused:UNUSED_PAD src0_sel:BYTE_0
	v_cvt_f16_i16_sdwa v229, sext(v229) dst_sel:DWORD dst_unused:UNUSED_PAD src0_sel:BYTE_0
	v_pack_b32_f16 v226, v226, v229
	v_lshrrev_b32_e32 v229, 16, v227
	v_cvt_f16_i16_sdwa v227, sext(v227) dst_sel:DWORD dst_unused:UNUSED_PAD src0_sel:BYTE_0
	v_pk_mul_f16 v236, v226, v228
	v_cvt_f16_i16_sdwa v229, sext(v229) dst_sel:DWORD dst_unused:UNUSED_PAD src0_sel:BYTE_0
	v_pack_b32_f16 v227, v227, v229
	v_mul_u32_u24_sdwa v229, v47, v217 dst_sel:DWORD dst_unused:UNUSED_PAD src0_sel:WORD_0 src1_sel:DWORD
	v_mul_u32_u24_sdwa v47, v47, v217 dst_sel:DWORD dst_unused:UNUSED_PAD src0_sel:WORD_1 src1_sel:DWORD
	v_pk_mul_f16 v237, v227, v228
	v_pk_fma_f16 v226, v235, v229, v38
	v_pk_fma_f16 v227, v234, v229, v39
	;; [unrolled: 1-line block ×4, first 2 shown]
	v_mul_u32_u24_sdwa v41, v43, v217 dst_sel:DWORD dst_unused:UNUSED_PAD src0_sel:WORD_0 src1_sel:DWORD
	v_mul_u32_u24_sdwa v43, v43, v217 dst_sel:DWORD dst_unused:UNUSED_PAD src0_sel:WORD_1 src1_sel:DWORD
	v_pk_fma_f16 v38, v235, v41, v126
	v_add_co_u32 v126, vcc_lo, v230, v175
	v_pk_fma_f16 v39, v234, v41, v127
	v_pk_fma_f16 v40, v236, v41, v128
	v_add_co_ci_u32_e64 v127, null, 0, v231, vcc_lo
	v_add_co_u32 v128, vcc_lo, v232, v177
	v_pk_fma_f16 v41, v237, v41, v129
	v_add_co_ci_u32_e64 v129, null, 0, v233, vcc_lo
	s_clause 0x1
	global_load_dword v126, v[126:127], off offset:2
	global_load_dword v127, v[128:129], off offset:2
	ds_write_b128 v135, v[226:229]
	ds_write_b128 v135, v[38:41] offset:16
	s_waitcnt vmcnt(1)
	v_pk_lshrrev_b16 v128, 8, v126 op_sel:[1,0] op_sel_hi:[0,0]
	v_pk_lshrrev_b16 v126, 8, v126 op_sel:[1,1] op_sel_hi:[0,1]
	v_lshrrev_b32_e32 v129, 16, v128
	v_cvt_f16_i16_sdwa v128, sext(v128) dst_sel:DWORD dst_unused:UNUSED_PAD src0_sel:BYTE_0
	v_cvt_f16_i16_sdwa v129, sext(v129) dst_sel:DWORD dst_unused:UNUSED_PAD src0_sel:BYTE_0
	v_pack_b32_f16 v128, v128, v129
	v_lshrrev_b32_e32 v129, 16, v126
	v_cvt_f16_i16_sdwa v126, sext(v126) dst_sel:DWORD dst_unused:UNUSED_PAD src0_sel:BYTE_0
	v_pk_mul_f16 v230, v128, v46
	v_cvt_f16_i16_sdwa v129, sext(v129) dst_sel:DWORD dst_unused:UNUSED_PAD src0_sel:BYTE_0
	v_pack_b32_f16 v126, v126, v129
	v_pk_mul_f16 v46, v126, v46
	s_waitcnt vmcnt(0)
	v_pk_lshrrev_b16 v126, 8, v127 op_sel:[1,0] op_sel_hi:[0,0]
	v_pk_lshrrev_b16 v127, 8, v127 op_sel:[1,1] op_sel_hi:[0,1]
	v_lshrrev_b32_e32 v128, 16, v126
	v_cvt_f16_i16_sdwa v126, sext(v126) dst_sel:DWORD dst_unused:UNUSED_PAD src0_sel:BYTE_0
	v_cvt_f16_i16_sdwa v128, sext(v128) dst_sel:DWORD dst_unused:UNUSED_PAD src0_sel:BYTE_0
	v_pack_b32_f16 v126, v126, v128
	v_lshrrev_b32_e32 v128, 16, v127
	v_cvt_f16_i16_sdwa v127, sext(v127) dst_sel:DWORD dst_unused:UNUSED_PAD src0_sel:BYTE_0
	v_pk_mul_f16 v231, v126, v42
	v_cvt_f16_i16_sdwa v128, sext(v128) dst_sel:DWORD dst_unused:UNUSED_PAD src0_sel:BYTE_0
	v_pk_fma_f16 v126, v230, v47, v226
	v_pk_fma_f16 v226, v230, v43, v38
	v_pack_b32_f16 v127, v127, v128
	v_pk_fma_f16 v128, v231, v47, v228
	v_pk_fma_f16 v228, v231, v43, v40
	v_pk_mul_f16 v42, v127, v42
	v_pk_fma_f16 v127, v46, v47, v227
	v_pk_fma_f16 v227, v46, v43, v39
	;; [unrolled: 1-line block ×4, first 2 shown]
	v_add_co_u32 v42, vcc_lo, s5, v164
	v_add_co_ci_u32_e64 v43, null, s11, v202, vcc_lo
	v_add_co_u32 v38, vcc_lo, v42, v223
	v_add_co_ci_u32_e64 v39, null, v43, v222, vcc_lo
	;; [unrolled: 2-line block ×3, first 2 shown]
	global_load_dword v232, v[40:41], off offset:2
	v_add_co_u32 v40, vcc_lo, v42, v225
	v_add_co_ci_u32_e64 v41, null, v43, v224, vcc_lo
	v_add_co_u32 v46, vcc_lo, s5, v165
	v_add_co_ci_u32_e64 v47, null, s11, v203, vcc_lo
	;; [unrolled: 2-line block ×5, first 2 shown]
	s_clause 0x4
	global_load_ushort v233, v[46:47], off
	global_load_ushort v234, v[42:43], off
	;; [unrolled: 1-line block ×4, first 2 shown]
	global_load_dword v39, v[230:231], off offset:2
	v_add_co_u32 v42, vcc_lo, v42, v175
	v_add_co_ci_u32_e64 v43, null, 0, v43, vcc_lo
	v_add_co_u32 v46, vcc_lo, v46, v177
	v_add_co_ci_u32_e64 v47, null, 0, v47, vcc_lo
	ds_write_b128 v135, v[126:129]
	ds_write_b128 v135, v[226:229] offset:16
	s_clause 0x1
	global_load_dword v42, v[42:43], off offset:2
	global_load_dword v43, v[46:47], off offset:2
	s_waitcnt vmcnt(7)
	v_pk_lshrrev_b16 v41, 8, v232 op_sel:[1,0] op_sel_hi:[0,0]
	v_lshrrev_b32_e32 v230, 16, v41
	v_cvt_f16_i16_sdwa v41, sext(v41) dst_sel:DWORD dst_unused:UNUSED_PAD src0_sel:BYTE_0
	v_cvt_f16_i16_sdwa v230, sext(v230) dst_sel:DWORD dst_unused:UNUSED_PAD src0_sel:BYTE_0
	v_pack_b32_f16 v41, v41, v230
	v_pk_lshrrev_b16 v230, 8, v232 op_sel:[1,1] op_sel_hi:[0,1]
	s_waitcnt vmcnt(4)
	v_mul_u32_u24_e32 v40, 0x10001, v40
	v_lshrrev_b32_e32 v231, 16, v230
	v_cvt_f16_i16_sdwa v230, sext(v230) dst_sel:DWORD dst_unused:UNUSED_PAD src0_sel:BYTE_0
	s_waitcnt vmcnt(3)
	v_mul_u32_u24_e32 v38, 0x10001, v38
	v_cvt_f16_i16_sdwa v231, sext(v231) dst_sel:DWORD dst_unused:UNUSED_PAD src0_sel:BYTE_0
	v_pack_b32_f16 v230, v230, v231
	v_pk_mul_f16 v231, v41, v38
	s_waitcnt vmcnt(1)
	v_pk_lshrrev_b16 v46, 8, v42 op_sel:[1,0] op_sel_hi:[0,0]
	v_pk_lshrrev_b16 v42, 8, v42 op_sel:[1,1] op_sel_hi:[0,1]
	v_pk_mul_f16 v230, v230, v38
	v_pk_lshrrev_b16 v38, 8, v39 op_sel:[1,0] op_sel_hi:[0,0]
	v_pk_lshrrev_b16 v39, 8, v39 op_sel:[1,1] op_sel_hi:[0,1]
	v_lshrrev_b32_e32 v47, 16, v46
	v_cvt_f16_i16_sdwa v46, sext(v46) dst_sel:DWORD dst_unused:UNUSED_PAD src0_sel:BYTE_0
	v_lshrrev_b32_e32 v41, 16, v38
	v_cvt_f16_i16_sdwa v38, sext(v38) dst_sel:DWORD dst_unused:UNUSED_PAD src0_sel:BYTE_0
	v_cvt_f16_i16_sdwa v47, sext(v47) dst_sel:DWORD dst_unused:UNUSED_PAD src0_sel:BYTE_0
	;; [unrolled: 1-line block ×3, first 2 shown]
	v_pack_b32_f16 v46, v46, v47
	v_lshrrev_b32_e32 v47, 16, v42
	v_cvt_f16_i16_sdwa v42, sext(v42) dst_sel:DWORD dst_unused:UNUSED_PAD src0_sel:BYTE_0
	v_pack_b32_f16 v38, v38, v41
	v_lshrrev_b32_e32 v41, 16, v39
	v_cvt_f16_i16_sdwa v39, sext(v39) dst_sel:DWORD dst_unused:UNUSED_PAD src0_sel:BYTE_0
	v_cvt_f16_i16_sdwa v47, sext(v47) dst_sel:DWORD dst_unused:UNUSED_PAD src0_sel:BYTE_0
	v_pk_mul_f16 v232, v38, v40
	v_cvt_f16_i16_sdwa v41, sext(v41) dst_sel:DWORD dst_unused:UNUSED_PAD src0_sel:BYTE_0
	v_pack_b32_f16 v42, v42, v47
	v_mul_u32_u24_e32 v47, 0x10001, v234
	v_pack_b32_f16 v39, v39, v41
	v_mul_u32_u24_sdwa v41, v48, v217 dst_sel:DWORD dst_unused:UNUSED_PAD src0_sel:WORD_0 src1_sel:DWORD
	v_mul_u32_u24_sdwa v48, v48, v217 dst_sel:DWORD dst_unused:UNUSED_PAD src0_sel:WORD_1 src1_sel:DWORD
	v_pk_mul_f16 v46, v46, v47
	v_pk_mul_f16 v42, v42, v47
	;; [unrolled: 1-line block ×3, first 2 shown]
	v_pk_fma_f16 v38, v231, v41, v126
	v_pk_fma_f16 v39, v230, v41, v127
	;; [unrolled: 1-line block ×3, first 2 shown]
	s_waitcnt vmcnt(0)
	v_pk_lshrrev_b16 v47, 8, v43 op_sel:[1,0] op_sel_hi:[0,0]
	v_pk_fma_f16 v41, v235, v41, v129
	v_mul_u32_u24_sdwa v129, v44, v217 dst_sel:DWORD dst_unused:UNUSED_PAD src0_sel:WORD_0 src1_sel:DWORD
	v_pk_lshrrev_b16 v43, 8, v43 op_sel:[1,1] op_sel_hi:[0,1]
	ds_write_b128 v135, v[38:41]
	v_pk_fma_f16 v126, v231, v129, v226
	v_lshrrev_b32_e32 v226, 16, v47
	v_cvt_f16_i16_sdwa v47, sext(v47) dst_sel:DWORD dst_unused:UNUSED_PAD src0_sel:BYTE_0
	v_pk_fma_f16 v127, v230, v129, v227
	v_pk_fma_f16 v128, v232, v129, v228
	v_pk_fma_f16 v129, v235, v129, v229
	v_cvt_f16_i16_sdwa v226, sext(v226) dst_sel:DWORD dst_unused:UNUSED_PAD src0_sel:BYTE_0
	v_pk_fma_f16 v227, v42, v48, v39
	ds_write_b128 v135, v[126:129] offset:16
	v_pack_b32_f16 v47, v47, v226
	v_lshrrev_b32_e32 v226, 16, v43
	v_cvt_f16_i16_sdwa v43, sext(v43) dst_sel:DWORD dst_unused:UNUSED_PAD src0_sel:BYTE_0
	v_cvt_f16_i16_sdwa v226, sext(v226) dst_sel:DWORD dst_unused:UNUSED_PAD src0_sel:BYTE_0
	v_pack_b32_f16 v43, v43, v226
	v_mul_u32_u24_e32 v226, 0x10001, v233
	v_pk_mul_f16 v43, v43, v226
	v_pk_mul_f16 v47, v47, v226
	v_pk_fma_f16 v226, v46, v48, v38
	v_pk_fma_f16 v229, v43, v48, v41
	v_mul_u32_u24_sdwa v41, v44, v217 dst_sel:DWORD dst_unused:UNUSED_PAD src0_sel:WORD_1 src1_sel:DWORD
	v_add_co_u32 v44, vcc_lo, s5, v170
	v_pk_fma_f16 v228, v47, v48, v40
	v_add_co_ci_u32_e64 v48, null, s11, v205, vcc_lo
	v_pk_fma_f16 v39, v42, v41, v127
	v_add_co_u32 v42, vcc_lo, v44, v223
	v_pk_fma_f16 v38, v46, v41, v126
	v_pk_fma_f16 v40, v47, v41, v128
	;; [unrolled: 1-line block ×3, first 2 shown]
	v_add_co_ci_u32_e64 v43, null, v48, v222, vcc_lo
	v_add_co_u32 v46, vcc_lo, v42, v175
	v_add_co_ci_u32_e64 v47, null, 0, v43, vcc_lo
	global_load_dword v128, v[46:47], off offset:2
	v_add_co_u32 v46, vcc_lo, v44, v225
	v_add_co_ci_u32_e64 v47, null, v48, v224, vcc_lo
	v_add_co_u32 v44, vcc_lo, s5, v174
	v_add_co_ci_u32_e64 v48, null, s11, v206, vcc_lo
	;; [unrolled: 2-line block ×5, first 2 shown]
	s_clause 0x4
	global_load_ushort v44, v[232:233], off
	global_load_ushort v48, v[230:231], off
	;; [unrolled: 1-line block ×4, first 2 shown]
	global_load_dword v43, v[126:127], off offset:2
	ds_write_b128 v135, v[226:229]
	ds_write_b128 v135, v[38:41] offset:16
	s_waitcnt vmcnt(5)
	v_pk_lshrrev_b16 v47, 8, v128 op_sel:[1,0] op_sel_hi:[0,0]
	v_lshrrev_b32_e32 v126, 16, v47
	v_cvt_f16_i16_sdwa v47, sext(v47) dst_sel:DWORD dst_unused:UNUSED_PAD src0_sel:BYTE_0
	v_cvt_f16_i16_sdwa v126, sext(v126) dst_sel:DWORD dst_unused:UNUSED_PAD src0_sel:BYTE_0
	v_pack_b32_f16 v47, v47, v126
	v_pk_lshrrev_b16 v126, 8, v128 op_sel:[1,1] op_sel_hi:[0,1]
	s_waitcnt vmcnt(2)
	v_mul_u32_u24_e32 v46, 0x10001, v46
	v_lshrrev_b32_e32 v127, 16, v126
	v_cvt_f16_i16_sdwa v126, sext(v126) dst_sel:DWORD dst_unused:UNUSED_PAD src0_sel:BYTE_0
	s_waitcnt vmcnt(1)
	v_mul_u32_u24_e32 v42, 0x10001, v42
	v_cvt_f16_i16_sdwa v127, sext(v127) dst_sel:DWORD dst_unused:UNUSED_PAD src0_sel:BYTE_0
	v_pk_mul_f16 v47, v47, v42
	v_pack_b32_f16 v126, v126, v127
	v_pk_mul_f16 v42, v126, v42
	s_waitcnt vmcnt(0)
	v_pk_lshrrev_b16 v126, 8, v43 op_sel:[1,0] op_sel_hi:[0,0]
	v_pk_lshrrev_b16 v43, 8, v43 op_sel:[1,1] op_sel_hi:[0,1]
	v_lshrrev_b32_e32 v127, 16, v126
	v_cvt_f16_i16_sdwa v126, sext(v126) dst_sel:DWORD dst_unused:UNUSED_PAD src0_sel:BYTE_0
	v_cvt_f16_i16_sdwa v127, sext(v127) dst_sel:DWORD dst_unused:UNUSED_PAD src0_sel:BYTE_0
	v_pack_b32_f16 v126, v126, v127
	v_lshrrev_b32_e32 v127, 16, v43
	v_cvt_f16_i16_sdwa v43, sext(v43) dst_sel:DWORD dst_unused:UNUSED_PAD src0_sel:BYTE_0
	v_pk_mul_f16 v234, v126, v46
	v_cvt_f16_i16_sdwa v127, sext(v127) dst_sel:DWORD dst_unused:UNUSED_PAD src0_sel:BYTE_0
	v_pack_b32_f16 v43, v43, v127
	v_pk_mul_f16 v43, v43, v46
	v_mul_u32_u24_sdwa v46, v49, v217 dst_sel:DWORD dst_unused:UNUSED_PAD src0_sel:WORD_0 src1_sel:DWORD
	v_pk_fma_f16 v126, v47, v46, v226
	v_pk_fma_f16 v127, v42, v46, v227
	;; [unrolled: 1-line block ×4, first 2 shown]
	v_mul_u32_u24_sdwa v46, v45, v217 dst_sel:DWORD dst_unused:UNUSED_PAD src0_sel:WORD_0 src1_sel:DWORD
	v_mul_u32_u24_sdwa v45, v45, v217 dst_sel:DWORD dst_unused:UNUSED_PAD src0_sel:WORD_1 src1_sel:DWORD
	v_pk_fma_f16 v226, v47, v46, v38
	v_add_co_u32 v38, vcc_lo, v230, v175
	v_pk_fma_f16 v227, v42, v46, v39
	v_pk_fma_f16 v228, v234, v46, v40
	v_add_co_ci_u32_e64 v39, null, 0, v231, vcc_lo
	v_add_co_u32 v40, vcc_lo, v232, v177
	v_pk_fma_f16 v229, v43, v46, v41
	v_add_co_ci_u32_e64 v41, null, 0, v233, vcc_lo
	s_clause 0x1
	global_load_dword v38, v[38:39], off offset:2
	global_load_dword v39, v[40:41], off offset:2
	v_mul_u32_u24_sdwa v42, v49, v217 dst_sel:DWORD dst_unused:UNUSED_PAD src0_sel:WORD_1 src1_sel:DWORD
	ds_write_b128 v135, v[126:129]
	ds_write_b128 v135, v[226:229] offset:16
	s_waitcnt vmcnt(1)
	v_pk_lshrrev_b16 v40, 8, v38 op_sel:[1,0] op_sel_hi:[0,0]
	v_pk_lshrrev_b16 v38, 8, v38 op_sel:[1,1] op_sel_hi:[0,1]
	v_lshrrev_b32_e32 v41, 16, v40
	v_cvt_f16_i16_sdwa v40, sext(v40) dst_sel:DWORD dst_unused:UNUSED_PAD src0_sel:BYTE_0
	v_cvt_f16_i16_sdwa v41, sext(v41) dst_sel:DWORD dst_unused:UNUSED_PAD src0_sel:BYTE_0
	v_pack_b32_f16 v40, v40, v41
	v_lshrrev_b32_e32 v41, 16, v38
	v_cvt_f16_i16_sdwa v38, sext(v38) dst_sel:DWORD dst_unused:UNUSED_PAD src0_sel:BYTE_0
	v_cvt_f16_i16_sdwa v41, sext(v41) dst_sel:DWORD dst_unused:UNUSED_PAD src0_sel:BYTE_0
	v_pack_b32_f16 v38, v38, v41
	v_mul_u32_u24_e32 v41, 0x10001, v48
	v_pk_mul_f16 v46, v38, v41
	s_waitcnt vmcnt(0)
	v_pk_lshrrev_b16 v38, 8, v39 op_sel:[1,0] op_sel_hi:[0,0]
	v_pk_mul_f16 v43, v40, v41
	v_pk_lshrrev_b16 v39, 8, v39 op_sel:[1,1] op_sel_hi:[0,1]
	v_lshrrev_b32_e32 v40, 16, v38
	v_cvt_f16_i16_sdwa v38, sext(v38) dst_sel:DWORD dst_unused:UNUSED_PAD src0_sel:BYTE_0
	v_cvt_f16_i16_sdwa v40, sext(v40) dst_sel:DWORD dst_unused:UNUSED_PAD src0_sel:BYTE_0
	v_pack_b32_f16 v38, v38, v40
	v_lshrrev_b32_e32 v40, 16, v39
	v_cvt_f16_i16_sdwa v39, sext(v39) dst_sel:DWORD dst_unused:UNUSED_PAD src0_sel:BYTE_0
	v_cvt_f16_i16_sdwa v40, sext(v40) dst_sel:DWORD dst_unused:UNUSED_PAD src0_sel:BYTE_0
	v_pack_b32_f16 v39, v39, v40
	v_mul_u32_u24_e32 v40, 0x10001, v44
	v_pk_mul_f16 v44, v38, v40
	v_pk_mul_f16 v47, v39, v40
	v_pk_fma_f16 v38, v43, v42, v126
	v_add_co_u32 v126, vcc_lo, s5, v179
	v_pk_fma_f16 v39, v46, v42, v127
	v_add_co_ci_u32_e64 v127, null, s11, v207, vcc_lo
	v_pk_fma_f16 v40, v44, v42, v128
	v_pk_fma_f16 v41, v47, v42, v129
	;; [unrolled: 1-line block ×4, first 2 shown]
	v_add_co_u32 v46, vcc_lo, v126, v223
	v_pk_fma_f16 v44, v44, v45, v228
	v_pk_fma_f16 v45, v47, v45, v229
	v_add_co_ci_u32_e64 v47, null, v127, v222, vcc_lo
	v_add_co_u32 v48, vcc_lo, v46, v175
	v_add_co_ci_u32_e64 v49, null, 0, v47, vcc_lo
	global_load_dword v228, v[48:49], off offset:2
	v_add_co_u32 v48, vcc_lo, v126, v225
	v_add_co_ci_u32_e64 v49, null, v127, v224, vcc_lo
	v_add_co_u32 v128, vcc_lo, s5, v184
	v_add_co_ci_u32_e64 v129, null, s11, v208, vcc_lo
	;; [unrolled: 2-line block ×5, first 2 shown]
	s_clause 0x4
	global_load_ushort v229, v[128:129], off
	global_load_ushort v230, v[126:127], off
	;; [unrolled: 1-line block ×4, first 2 shown]
	global_load_dword v47, v[226:227], off offset:2
	ds_write_b128 v135, v[38:41]
	ds_write_b128 v135, v[42:45] offset:16
	s_waitcnt vmcnt(5)
	v_pk_lshrrev_b16 v49, 8, v228 op_sel:[1,0] op_sel_hi:[0,0]
	v_lshrrev_b32_e32 v226, 16, v49
	v_cvt_f16_i16_sdwa v49, sext(v49) dst_sel:DWORD dst_unused:UNUSED_PAD src0_sel:BYTE_0
	v_cvt_f16_i16_sdwa v226, sext(v226) dst_sel:DWORD dst_unused:UNUSED_PAD src0_sel:BYTE_0
	v_pack_b32_f16 v49, v49, v226
	v_pk_lshrrev_b16 v226, 8, v228 op_sel:[1,1] op_sel_hi:[0,1]
	s_waitcnt vmcnt(2)
	v_mul_u32_u24_e32 v48, 0x10001, v48
	v_lshrrev_b32_e32 v227, 16, v226
	v_cvt_f16_i16_sdwa v226, sext(v226) dst_sel:DWORD dst_unused:UNUSED_PAD src0_sel:BYTE_0
	s_waitcnt vmcnt(1)
	v_mul_u32_u24_e32 v46, 0x10001, v46
	v_cvt_f16_i16_sdwa v227, sext(v227) dst_sel:DWORD dst_unused:UNUSED_PAD src0_sel:BYTE_0
	v_pack_b32_f16 v226, v226, v227
	v_pk_mul_f16 v227, v49, v46
	v_pk_mul_f16 v226, v226, v46
	s_waitcnt vmcnt(0)
	v_pk_lshrrev_b16 v46, 8, v47 op_sel:[1,0] op_sel_hi:[0,0]
	v_pk_lshrrev_b16 v47, 8, v47 op_sel:[1,1] op_sel_hi:[0,1]
	v_lshrrev_b32_e32 v49, 16, v46
	v_cvt_f16_i16_sdwa v46, sext(v46) dst_sel:DWORD dst_unused:UNUSED_PAD src0_sel:BYTE_0
	v_cvt_f16_i16_sdwa v49, sext(v49) dst_sel:DWORD dst_unused:UNUSED_PAD src0_sel:BYTE_0
	v_pack_b32_f16 v46, v46, v49
	v_lshrrev_b32_e32 v49, 16, v47
	v_cvt_f16_i16_sdwa v47, sext(v47) dst_sel:DWORD dst_unused:UNUSED_PAD src0_sel:BYTE_0
	v_pk_mul_f16 v228, v46, v48
	v_cvt_f16_i16_sdwa v49, sext(v49) dst_sel:DWORD dst_unused:UNUSED_PAD src0_sel:BYTE_0
	v_pack_b32_f16 v47, v47, v49
	v_mul_u32_u24_sdwa v49, v50, v217 dst_sel:DWORD dst_unused:UNUSED_PAD src0_sel:WORD_0 src1_sel:DWORD
	v_pk_mul_f16 v231, v47, v48
	v_pk_fma_f16 v46, v227, v49, v38
	v_pk_fma_f16 v47, v226, v49, v39
	v_pk_fma_f16 v48, v228, v49, v40
	v_pk_fma_f16 v49, v231, v49, v41
	s_waitcnt lgkmcnt(17)
	v_mul_u32_u24_sdwa v41, v34, v217 dst_sel:DWORD dst_unused:UNUSED_PAD src0_sel:WORD_0 src1_sel:DWORD
	v_mul_u32_u24_sdwa v34, v34, v217 dst_sel:DWORD dst_unused:UNUSED_PAD src0_sel:WORD_1 src1_sel:DWORD
	v_pk_fma_f16 v38, v227, v41, v42
	v_add_co_u32 v42, vcc_lo, v126, v175
	v_pk_fma_f16 v39, v226, v41, v43
	v_pk_fma_f16 v40, v228, v41, v44
	v_add_co_ci_u32_e64 v43, null, 0, v127, vcc_lo
	v_add_co_u32 v44, vcc_lo, v128, v177
	v_pk_fma_f16 v41, v231, v41, v45
	v_add_co_ci_u32_e64 v45, null, 0, v129, vcc_lo
	s_clause 0x1
	global_load_dword v42, v[42:43], off offset:2
	global_load_dword v43, v[44:45], off offset:2
	ds_write_b128 v135, v[46:49]
	ds_write_b128 v135, v[38:41] offset:16
	s_waitcnt vmcnt(1)
	v_pk_lshrrev_b16 v44, 8, v42 op_sel:[1,0] op_sel_hi:[0,0]
	v_pk_lshrrev_b16 v42, 8, v42 op_sel:[1,1] op_sel_hi:[0,1]
	v_lshrrev_b32_e32 v45, 16, v44
	v_cvt_f16_i16_sdwa v44, sext(v44) dst_sel:DWORD dst_unused:UNUSED_PAD src0_sel:BYTE_0
	v_cvt_f16_i16_sdwa v45, sext(v45) dst_sel:DWORD dst_unused:UNUSED_PAD src0_sel:BYTE_0
	v_pack_b32_f16 v44, v44, v45
	v_lshrrev_b32_e32 v45, 16, v42
	v_cvt_f16_i16_sdwa v42, sext(v42) dst_sel:DWORD dst_unused:UNUSED_PAD src0_sel:BYTE_0
	v_cvt_f16_i16_sdwa v45, sext(v45) dst_sel:DWORD dst_unused:UNUSED_PAD src0_sel:BYTE_0
	v_pack_b32_f16 v42, v42, v45
	v_mul_u32_u24_e32 v45, 0x10001, v230
	v_pk_mul_f16 v127, v42, v45
	s_waitcnt vmcnt(0)
	v_pk_lshrrev_b16 v42, 8, v43 op_sel:[1,0] op_sel_hi:[0,0]
	v_pk_mul_f16 v126, v44, v45
	v_pk_lshrrev_b16 v43, 8, v43 op_sel:[1,1] op_sel_hi:[0,1]
	v_mul_u32_u24_sdwa v45, v50, v217 dst_sel:DWORD dst_unused:UNUSED_PAD src0_sel:WORD_1 src1_sel:DWORD
	v_lshrrev_b32_e32 v44, 16, v42
	v_cvt_f16_i16_sdwa v42, sext(v42) dst_sel:DWORD dst_unused:UNUSED_PAD src0_sel:BYTE_0
	v_cvt_f16_i16_sdwa v44, sext(v44) dst_sel:DWORD dst_unused:UNUSED_PAD src0_sel:BYTE_0
	v_pack_b32_f16 v42, v42, v44
	v_lshrrev_b32_e32 v44, 16, v43
	v_cvt_f16_i16_sdwa v43, sext(v43) dst_sel:DWORD dst_unused:UNUSED_PAD src0_sel:BYTE_0
	v_cvt_f16_i16_sdwa v44, sext(v44) dst_sel:DWORD dst_unused:UNUSED_PAD src0_sel:BYTE_0
	v_pack_b32_f16 v43, v43, v44
	v_mul_u32_u24_e32 v44, 0x10001, v229
	v_pk_mul_f16 v128, v42, v44
	v_pk_mul_f16 v129, v43, v44
	v_pk_fma_f16 v42, v126, v45, v46
	v_pk_fma_f16 v43, v127, v45, v47
	;; [unrolled: 1-line block ×8, first 2 shown]
	v_add_co_u32 v34, vcc_lo, s5, v189
	v_add_co_ci_u32_e64 v50, null, s11, v210, vcc_lo
	v_add_co_u32 v38, vcc_lo, v34, v223
	v_add_co_ci_u32_e64 v39, null, v50, v222, vcc_lo
	;; [unrolled: 2-line block ×3, first 2 shown]
	global_load_dword v228, v[40:41], off offset:2
	v_add_co_u32 v40, vcc_lo, v34, v225
	v_add_co_ci_u32_e64 v41, null, v50, v224, vcc_lo
	v_add_co_u32 v34, vcc_lo, s5, v194
	v_add_co_ci_u32_e64 v50, null, s11, v211, vcc_lo
	;; [unrolled: 2-line block ×5, first 2 shown]
	s_clause 0x4
	global_load_ushort v34, v[128:129], off
	global_load_ushort v50, v[126:127], off
	global_load_ushort v40, v[40:41], off
	global_load_ushort v38, v[38:39], off
	global_load_dword v39, v[226:227], off offset:2
	ds_write_b128 v135, v[42:45]
	ds_write_b128 v135, v[46:49] offset:16
	s_waitcnt vmcnt(5)
	v_pk_lshrrev_b16 v41, 8, v228 op_sel:[1,0] op_sel_hi:[0,0]
	v_lshrrev_b32_e32 v226, 16, v41
	v_cvt_f16_i16_sdwa v41, sext(v41) dst_sel:DWORD dst_unused:UNUSED_PAD src0_sel:BYTE_0
	v_cvt_f16_i16_sdwa v226, sext(v226) dst_sel:DWORD dst_unused:UNUSED_PAD src0_sel:BYTE_0
	v_pack_b32_f16 v41, v41, v226
	v_pk_lshrrev_b16 v226, 8, v228 op_sel:[1,1] op_sel_hi:[0,1]
	s_waitcnt vmcnt(4)
	v_mul_u32_u24_e32 v34, 0x10001, v34
	s_waitcnt vmcnt(2)
	v_mul_u32_u24_e32 v40, 0x10001, v40
	v_lshrrev_b32_e32 v227, 16, v226
	v_cvt_f16_i16_sdwa v226, sext(v226) dst_sel:DWORD dst_unused:UNUSED_PAD src0_sel:BYTE_0
	s_waitcnt vmcnt(1)
	v_mul_u32_u24_e32 v38, 0x10001, v38
	v_cvt_f16_i16_sdwa v227, sext(v227) dst_sel:DWORD dst_unused:UNUSED_PAD src0_sel:BYTE_0
	v_pack_b32_f16 v226, v226, v227
	v_pk_mul_f16 v227, v41, v38
	v_pk_mul_f16 v226, v226, v38
	s_waitcnt vmcnt(0)
	v_pk_lshrrev_b16 v38, 8, v39 op_sel:[1,0] op_sel_hi:[0,0]
	v_pk_lshrrev_b16 v39, 8, v39 op_sel:[1,1] op_sel_hi:[0,1]
	v_lshrrev_b32_e32 v41, 16, v38
	v_cvt_f16_i16_sdwa v38, sext(v38) dst_sel:DWORD dst_unused:UNUSED_PAD src0_sel:BYTE_0
	v_cvt_f16_i16_sdwa v41, sext(v41) dst_sel:DWORD dst_unused:UNUSED_PAD src0_sel:BYTE_0
	v_pack_b32_f16 v38, v38, v41
	v_lshrrev_b32_e32 v41, 16, v39
	v_cvt_f16_i16_sdwa v39, sext(v39) dst_sel:DWORD dst_unused:UNUSED_PAD src0_sel:BYTE_0
	v_pk_mul_f16 v228, v38, v40
	v_cvt_f16_i16_sdwa v41, sext(v41) dst_sel:DWORD dst_unused:UNUSED_PAD src0_sel:BYTE_0
	v_pack_b32_f16 v39, v39, v41
	v_mul_u32_u24_sdwa v41, v51, v217 dst_sel:DWORD dst_unused:UNUSED_PAD src0_sel:WORD_0 src1_sel:DWORD
	v_pk_mul_f16 v229, v39, v40
	v_pk_fma_f16 v38, v227, v41, v42
	v_pk_fma_f16 v39, v226, v41, v43
	;; [unrolled: 1-line block ×4, first 2 shown]
	v_mul_u32_u24_sdwa v45, v35, v217 dst_sel:DWORD dst_unused:UNUSED_PAD src0_sel:WORD_0 src1_sel:DWORD
	v_mul_u32_u24_sdwa v35, v35, v217 dst_sel:DWORD dst_unused:UNUSED_PAD src0_sel:WORD_1 src1_sel:DWORD
	v_pk_fma_f16 v42, v227, v45, v46
	v_add_co_u32 v46, vcc_lo, v126, v175
	v_pk_fma_f16 v43, v226, v45, v47
	v_pk_fma_f16 v44, v228, v45, v48
	v_add_co_ci_u32_e64 v47, null, 0, v127, vcc_lo
	v_add_co_u32 v48, vcc_lo, v128, v177
	v_pk_fma_f16 v45, v229, v45, v49
	v_add_co_ci_u32_e64 v49, null, 0, v129, vcc_lo
	s_clause 0x1
	global_load_dword v46, v[46:47], off offset:2
	global_load_dword v47, v[48:49], off offset:2
	ds_write_b128 v135, v[38:41]
	ds_write_b128 v135, v[42:45] offset:16
	s_waitcnt vmcnt(1)
	v_pk_lshrrev_b16 v48, 8, v46 op_sel:[1,0] op_sel_hi:[0,0]
	v_pk_lshrrev_b16 v46, 8, v46 op_sel:[1,1] op_sel_hi:[0,1]
	v_lshrrev_b32_e32 v49, 16, v48
	v_cvt_f16_i16_sdwa v48, sext(v48) dst_sel:DWORD dst_unused:UNUSED_PAD src0_sel:BYTE_0
	v_cvt_f16_i16_sdwa v49, sext(v49) dst_sel:DWORD dst_unused:UNUSED_PAD src0_sel:BYTE_0
	v_pack_b32_f16 v48, v48, v49
	v_lshrrev_b32_e32 v49, 16, v46
	v_cvt_f16_i16_sdwa v46, sext(v46) dst_sel:DWORD dst_unused:UNUSED_PAD src0_sel:BYTE_0
	v_cvt_f16_i16_sdwa v49, sext(v49) dst_sel:DWORD dst_unused:UNUSED_PAD src0_sel:BYTE_0
	v_pack_b32_f16 v46, v46, v49
	v_mul_u32_u24_e32 v49, 0x10001, v50
	v_pk_mul_f16 v126, v46, v49
	s_waitcnt vmcnt(0)
	v_pk_lshrrev_b16 v46, 8, v47 op_sel:[1,0] op_sel_hi:[0,0]
	v_pk_mul_f16 v50, v48, v49
	v_pk_lshrrev_b16 v47, 8, v47 op_sel:[1,1] op_sel_hi:[0,1]
	v_mul_u32_u24_sdwa v49, v51, v217 dst_sel:DWORD dst_unused:UNUSED_PAD src0_sel:WORD_1 src1_sel:DWORD
	v_lshrrev_b32_e32 v48, 16, v46
	v_cvt_f16_i16_sdwa v46, sext(v46) dst_sel:DWORD dst_unused:UNUSED_PAD src0_sel:BYTE_0
	v_cvt_f16_i16_sdwa v48, sext(v48) dst_sel:DWORD dst_unused:UNUSED_PAD src0_sel:BYTE_0
	v_pack_b32_f16 v46, v46, v48
	v_lshrrev_b32_e32 v48, 16, v47
	v_cvt_f16_i16_sdwa v47, sext(v47) dst_sel:DWORD dst_unused:UNUSED_PAD src0_sel:BYTE_0
	v_pk_mul_f16 v127, v46, v34
	v_cvt_f16_i16_sdwa v48, sext(v48) dst_sel:DWORD dst_unused:UNUSED_PAD src0_sel:BYTE_0
	v_pk_fma_f16 v46, v50, v49, v38
	v_pk_fma_f16 v38, v50, v35, v42
	v_pack_b32_f16 v47, v47, v48
	v_pk_fma_f16 v48, v127, v49, v40
	v_pk_fma_f16 v40, v127, v35, v44
	v_add_co_u32 v44, vcc_lo, s5, v199
	v_pk_mul_f16 v34, v47, v34
	v_pk_fma_f16 v47, v126, v49, v39
	v_pk_fma_f16 v39, v126, v35, v43
	;; [unrolled: 1-line block ×4, first 2 shown]
	v_add_co_ci_u32_e64 v45, null, s11, v212, vcc_lo
	v_add_co_u32 v34, vcc_lo, v44, v223
	v_add_co_ci_u32_e64 v35, null, v45, v222, vcc_lo
	v_add_co_u32 v42, vcc_lo, v34, v175
	v_add_co_ci_u32_e64 v43, null, 0, v35, vcc_lo
	global_load_dword v128, v[42:43], off offset:2
	v_add_co_u32 v42, vcc_lo, v44, v225
	v_add_co_ci_u32_e64 v43, null, v45, v224, vcc_lo
	v_add_co_u32 v44, vcc_lo, s5, v204
	v_add_co_ci_u32_e64 v45, null, s11, v213, vcc_lo
	;; [unrolled: 2-line block ×5, first 2 shown]
	s_clause 0x4
	global_load_ushort v129, v[126:127], off
	global_load_ushort v226, v[50:51], off
	;; [unrolled: 1-line block ×4, first 2 shown]
	global_load_dword v35, v[44:45], off offset:2
	ds_write_b128 v135, v[46:49]
	ds_write_b128 v135, v[38:41] offset:16
	s_waitcnt vmcnt(5)
	v_pk_lshrrev_b16 v43, 8, v128 op_sel:[1,0] op_sel_hi:[0,0]
	v_lshrrev_b32_e32 v44, 16, v43
	v_cvt_f16_i16_sdwa v43, sext(v43) dst_sel:DWORD dst_unused:UNUSED_PAD src0_sel:BYTE_0
	v_cvt_f16_i16_sdwa v44, sext(v44) dst_sel:DWORD dst_unused:UNUSED_PAD src0_sel:BYTE_0
	v_pack_b32_f16 v43, v43, v44
	v_pk_lshrrev_b16 v44, 8, v128 op_sel:[1,1] op_sel_hi:[0,1]
	s_waitcnt vmcnt(2)
	v_mul_u32_u24_e32 v42, 0x10001, v42
	v_lshrrev_b32_e32 v45, 16, v44
	v_cvt_f16_i16_sdwa v44, sext(v44) dst_sel:DWORD dst_unused:UNUSED_PAD src0_sel:BYTE_0
	s_waitcnt vmcnt(1)
	v_mul_u32_u24_e32 v34, 0x10001, v34
	v_cvt_f16_i16_sdwa v45, sext(v45) dst_sel:DWORD dst_unused:UNUSED_PAD src0_sel:BYTE_0
	v_pk_mul_f16 v128, v43, v34
	s_waitcnt vmcnt(0)
	v_pk_lshrrev_b16 v43, 8, v35 op_sel:[1,0] op_sel_hi:[0,0]
	v_pk_lshrrev_b16 v35, 8, v35 op_sel:[1,1] op_sel_hi:[0,1]
	v_pack_b32_f16 v44, v44, v45
	v_mul_u32_u24_sdwa v45, v52, v217 dst_sel:DWORD dst_unused:UNUSED_PAD src0_sel:WORD_0 src1_sel:DWORD
	v_pk_mul_f16 v34, v44, v34
	v_lshrrev_b32_e32 v44, 16, v43
	v_cvt_f16_i16_sdwa v43, sext(v43) dst_sel:DWORD dst_unused:UNUSED_PAD src0_sel:BYTE_0
	v_cvt_f16_i16_sdwa v44, sext(v44) dst_sel:DWORD dst_unused:UNUSED_PAD src0_sel:BYTE_0
	v_pack_b32_f16 v43, v43, v44
	v_lshrrev_b32_e32 v44, 16, v35
	v_cvt_f16_i16_sdwa v35, sext(v35) dst_sel:DWORD dst_unused:UNUSED_PAD src0_sel:BYTE_0
	v_pk_mul_f16 v227, v43, v42
	v_cvt_f16_i16_sdwa v44, sext(v44) dst_sel:DWORD dst_unused:UNUSED_PAD src0_sel:BYTE_0
	v_pk_fma_f16 v43, v34, v45, v47
	v_pack_b32_f16 v35, v35, v44
	v_pk_fma_f16 v44, v227, v45, v48
	v_pk_mul_f16 v35, v35, v42
	v_pk_fma_f16 v42, v128, v45, v46
	v_pk_fma_f16 v45, v35, v45, v49
	v_mul_u32_u24_sdwa v49, v36, v217 dst_sel:DWORD dst_unused:UNUSED_PAD src0_sel:WORD_0 src1_sel:DWORD
	v_mul_u32_u24_sdwa v36, v36, v217 dst_sel:DWORD dst_unused:UNUSED_PAD src0_sel:WORD_1 src1_sel:DWORD
	v_pk_fma_f16 v47, v34, v49, v39
	v_add_co_u32 v34, vcc_lo, v50, v175
	v_pk_fma_f16 v46, v128, v49, v38
	v_pk_fma_f16 v48, v227, v49, v40
	;; [unrolled: 1-line block ×3, first 2 shown]
	v_add_co_ci_u32_e64 v35, null, 0, v51, vcc_lo
	v_add_co_u32 v38, vcc_lo, v126, v177
	v_add_co_ci_u32_e64 v39, null, 0, v127, vcc_lo
	s_clause 0x1
	global_load_dword v34, v[34:35], off offset:2
	global_load_dword v35, v[38:39], off offset:2
	v_mul_u32_u24_sdwa v41, v52, v217 dst_sel:DWORD dst_unused:UNUSED_PAD src0_sel:WORD_1 src1_sel:DWORD
	ds_write_b128 v135, v[42:45]
	ds_write_b128 v135, v[46:49] offset:16
	s_waitcnt vmcnt(1)
	v_pk_lshrrev_b16 v38, 8, v34 op_sel:[1,0] op_sel_hi:[0,0]
	v_pk_lshrrev_b16 v34, 8, v34 op_sel:[1,1] op_sel_hi:[0,1]
	v_lshrrev_b32_e32 v39, 16, v38
	v_cvt_f16_i16_sdwa v38, sext(v38) dst_sel:DWORD dst_unused:UNUSED_PAD src0_sel:BYTE_0
	v_cvt_f16_i16_sdwa v39, sext(v39) dst_sel:DWORD dst_unused:UNUSED_PAD src0_sel:BYTE_0
	v_pack_b32_f16 v38, v38, v39
	v_lshrrev_b32_e32 v39, 16, v34
	v_cvt_f16_i16_sdwa v34, sext(v34) dst_sel:DWORD dst_unused:UNUSED_PAD src0_sel:BYTE_0
	v_cvt_f16_i16_sdwa v39, sext(v39) dst_sel:DWORD dst_unused:UNUSED_PAD src0_sel:BYTE_0
	v_pack_b32_f16 v34, v34, v39
	v_mul_u32_u24_e32 v39, 0x10001, v226
	v_pk_mul_f16 v50, v38, v39
	s_waitcnt vmcnt(0)
	v_pk_lshrrev_b16 v38, 8, v35 op_sel:[1,0] op_sel_hi:[0,0]
	v_pk_mul_f16 v34, v34, v39
	v_pk_lshrrev_b16 v35, 8, v35 op_sel:[1,1] op_sel_hi:[0,1]
	v_lshrrev_b32_e32 v39, 16, v38
	v_cvt_f16_i16_sdwa v38, sext(v38) dst_sel:DWORD dst_unused:UNUSED_PAD src0_sel:BYTE_0
	v_cvt_f16_i16_sdwa v39, sext(v39) dst_sel:DWORD dst_unused:UNUSED_PAD src0_sel:BYTE_0
	v_pack_b32_f16 v38, v38, v39
	v_lshrrev_b32_e32 v39, 16, v35
	v_cvt_f16_i16_sdwa v35, sext(v35) dst_sel:DWORD dst_unused:UNUSED_PAD src0_sel:BYTE_0
	v_cvt_f16_i16_sdwa v39, sext(v39) dst_sel:DWORD dst_unused:UNUSED_PAD src0_sel:BYTE_0
	v_pack_b32_f16 v35, v35, v39
	v_mul_u32_u24_e32 v39, 0x10001, v129
	v_pk_mul_f16 v51, v38, v39
	v_pk_mul_f16 v35, v35, v39
	v_pk_fma_f16 v38, v50, v41, v42
	v_pk_fma_f16 v39, v34, v41, v43
	;; [unrolled: 1-line block ×8, first 2 shown]
	v_add_co_u32 v36, vcc_lo, s5, v209
	v_add_co_ci_u32_e64 v47, null, s11, v214, vcc_lo
	v_add_co_u32 v34, vcc_lo, v36, v223
	v_add_co_ci_u32_e64 v35, null, v47, v222, vcc_lo
	v_add_co_u32 v46, vcc_lo, v36, v225
	v_add_co_ci_u32_e64 v47, null, v47, v224, vcc_lo
	v_add_co_u32 v36, vcc_lo, s5, v215
	v_add_co_ci_u32_e64 v48, null, s11, v216, vcc_lo
	s_add_u32 s5, s5, s18
	v_add_co_u32 v50, vcc_lo, v36, v223
	v_add_co_ci_u32_e64 v51, null, v48, v222, vcc_lo
	v_add_co_u32 v126, vcc_lo, v36, v225
	v_add_co_ci_u32_e64 v127, null, v48, v224, vcc_lo
	;; [unrolled: 2-line block ×3, first 2 shown]
	s_addc_u32 s11, s11, 0
	s_add_u32 s8, s8, s2
	s_addc_u32 s9, s9, s3
	global_load_dword v36, v[48:49], off offset:2
	v_add_co_u32 v48, vcc_lo, v46, v177
	v_add_co_ci_u32_e64 v49, null, 0, v47, vcc_lo
	s_clause 0x4
	global_load_ushort v52, v[126:127], off
	global_load_ushort v128, v[50:51], off
	;; [unrolled: 1-line block ×4, first 2 shown]
	global_load_dword v35, v[48:49], off offset:2
	v_mul_u32_u24_sdwa v49, v53, v217 dst_sel:DWORD dst_unused:UNUSED_PAD src0_sel:WORD_0 src1_sel:DWORD
	ds_write_b128 v135, v[38:41]
	ds_write_b128 v135, v[42:45] offset:16
	s_cmp_ge_i32 s12, s39
	s_waitcnt vmcnt(5)
	v_pk_lshrrev_b16 v47, 8, v36 op_sel:[1,0] op_sel_hi:[0,0]
	v_pk_lshrrev_b16 v36, 8, v36 op_sel:[1,1] op_sel_hi:[0,1]
	s_waitcnt vmcnt(2)
	v_mul_u32_u24_e32 v46, 0x10001, v46
	s_waitcnt vmcnt(1)
	v_mul_u32_u24_e32 v34, 0x10001, v34
	v_lshrrev_b32_e32 v48, 16, v47
	v_cvt_f16_i16_sdwa v47, sext(v47) dst_sel:DWORD dst_unused:UNUSED_PAD src0_sel:BYTE_0
	v_cvt_f16_i16_sdwa v48, sext(v48) dst_sel:DWORD dst_unused:UNUSED_PAD src0_sel:BYTE_0
	v_pack_b32_f16 v47, v47, v48
	v_lshrrev_b32_e32 v48, 16, v36
	v_cvt_f16_i16_sdwa v36, sext(v36) dst_sel:DWORD dst_unused:UNUSED_PAD src0_sel:BYTE_0
	v_pk_mul_f16 v129, v47, v34
	v_cvt_f16_i16_sdwa v48, sext(v48) dst_sel:DWORD dst_unused:UNUSED_PAD src0_sel:BYTE_0
	v_pack_b32_f16 v36, v36, v48
	v_pk_mul_f16 v34, v36, v34
	s_waitcnt vmcnt(0)
	v_pk_lshrrev_b16 v36, 8, v35 op_sel:[1,0] op_sel_hi:[0,0]
	v_pk_lshrrev_b16 v35, 8, v35 op_sel:[1,1] op_sel_hi:[0,1]
	v_lshrrev_b32_e32 v47, 16, v36
	v_cvt_f16_i16_sdwa v36, sext(v36) dst_sel:DWORD dst_unused:UNUSED_PAD src0_sel:BYTE_0
	v_cvt_f16_i16_sdwa v47, sext(v47) dst_sel:DWORD dst_unused:UNUSED_PAD src0_sel:BYTE_0
	v_pack_b32_f16 v36, v36, v47
	v_lshrrev_b32_e32 v47, 16, v35
	v_cvt_f16_i16_sdwa v35, sext(v35) dst_sel:DWORD dst_unused:UNUSED_PAD src0_sel:BYTE_0
	v_pk_mul_f16 v36, v36, v46
	v_cvt_f16_i16_sdwa v47, sext(v47) dst_sel:DWORD dst_unused:UNUSED_PAD src0_sel:BYTE_0
	v_pk_fma_f16 v48, v36, v49, v40
	v_pack_b32_f16 v35, v35, v47
	v_pk_fma_f16 v47, v34, v49, v39
	v_pk_mul_f16 v35, v35, v46
	v_pk_fma_f16 v46, v129, v49, v38
	v_pk_fma_f16 v49, v35, v49, v41
	v_mul_u32_u24_sdwa v41, v37, v217 dst_sel:DWORD dst_unused:UNUSED_PAD src0_sel:WORD_0 src1_sel:DWORD
	v_mul_u32_u24_sdwa v37, v37, v217 dst_sel:DWORD dst_unused:UNUSED_PAD src0_sel:WORD_1 src1_sel:DWORD
	v_pk_fma_f16 v39, v34, v41, v43
	v_add_co_u32 v34, vcc_lo, v50, v175
	v_pk_fma_f16 v38, v129, v41, v42
	v_pk_fma_f16 v40, v36, v41, v44
	;; [unrolled: 1-line block ×3, first 2 shown]
	v_add_co_ci_u32_e64 v35, null, 0, v51, vcc_lo
	v_add_co_u32 v42, vcc_lo, v126, v177
	v_add_co_ci_u32_e64 v43, null, 0, v127, vcc_lo
	s_clause 0x1
	global_load_dword v34, v[34:35], off offset:2
	global_load_dword v35, v[42:43], off offset:2
	v_mul_u32_u24_sdwa v36, v53, v217 dst_sel:DWORD dst_unused:UNUSED_PAD src0_sel:WORD_1 src1_sel:DWORD
	ds_write_b128 v135, v[46:49]
	s_waitcnt vmcnt(1)
	v_pk_lshrrev_b16 v42, 8, v34 op_sel:[1,0] op_sel_hi:[0,0]
	v_pk_lshrrev_b16 v34, 8, v34 op_sel:[1,1] op_sel_hi:[0,1]
	v_lshrrev_b32_e32 v43, 16, v42
	v_cvt_f16_i16_sdwa v42, sext(v42) dst_sel:DWORD dst_unused:UNUSED_PAD src0_sel:BYTE_0
	v_cvt_f16_i16_sdwa v43, sext(v43) dst_sel:DWORD dst_unused:UNUSED_PAD src0_sel:BYTE_0
	v_pack_b32_f16 v42, v42, v43
	v_lshrrev_b32_e32 v43, 16, v34
	v_cvt_f16_i16_sdwa v34, sext(v34) dst_sel:DWORD dst_unused:UNUSED_PAD src0_sel:BYTE_0
	v_cvt_f16_i16_sdwa v43, sext(v43) dst_sel:DWORD dst_unused:UNUSED_PAD src0_sel:BYTE_0
	v_pack_b32_f16 v34, v34, v43
	v_mul_u32_u24_e32 v43, 0x10001, v128
	v_pk_mul_f16 v51, v34, v43
	s_waitcnt vmcnt(0)
	v_pk_lshrrev_b16 v34, 8, v35 op_sel:[1,0] op_sel_hi:[0,0]
	v_pk_mul_f16 v50, v42, v43
	v_pk_lshrrev_b16 v35, 8, v35 op_sel:[1,1] op_sel_hi:[0,1]
	v_pk_fma_f16 v43, v51, v36, v47
	v_lshrrev_b32_e32 v42, 16, v34
	v_cvt_f16_i16_sdwa v34, sext(v34) dst_sel:DWORD dst_unused:UNUSED_PAD src0_sel:BYTE_0
	v_cvt_f16_i16_sdwa v42, sext(v42) dst_sel:DWORD dst_unused:UNUSED_PAD src0_sel:BYTE_0
	v_pack_b32_f16 v34, v34, v42
	v_lshrrev_b32_e32 v42, 16, v35
	v_cvt_f16_i16_sdwa v35, sext(v35) dst_sel:DWORD dst_unused:UNUSED_PAD src0_sel:BYTE_0
	v_cvt_f16_i16_sdwa v42, sext(v42) dst_sel:DWORD dst_unused:UNUSED_PAD src0_sel:BYTE_0
	v_pack_b32_f16 v35, v35, v42
	v_mul_u32_u24_e32 v42, 0x10001, v52
	v_pk_mul_f16 v52, v34, v42
	v_pk_mul_f16 v53, v35, v42
	v_pk_fma_f16 v42, v50, v36, v46
	v_pk_fma_f16 v34, v50, v37, v38
	;; [unrolled: 1-line block ×7, first 2 shown]
	ds_write_b128 v135, v[38:41] offset:16
	ds_write_b128 v135, v[42:45]
	ds_write_b128 v135, v[34:37] offset:16
	v_mov_b32_e32 v37, v124
	v_mov_b32_e32 v38, v125
	s_cbranch_scc1 .LBB31_46
.LBB31_22:                              ; =>This Inner Loop Header: Depth=1
	v_add_co_u32 v34, vcc_lo, s13, v153
	v_add_co_ci_u32_e64 v35, null, s16, v157, vcc_lo
	v_mov_b32_e32 v48, 0
	v_add_co_u32 v46, vcc_lo, v34, v137
	v_add_co_ci_u32_e64 v47, null, 0, v35, vcc_lo
	s_clause 0x17
	global_load_ushort v40, v[34:35], off
	global_load_ushort v41, v[34:35], off offset:18
	global_load_ushort v42, v[34:35], off offset:36
	;; [unrolled: 1-line block ×7, first 2 shown]
	global_load_dword v39, v[46:47], off offset:2
	global_load_dword v49, v[46:47], off offset:10
	;; [unrolled: 1-line block ×16, first 2 shown]
	v_mov_b32_e32 v124, 0
	v_mov_b32_e32 v125, 0
	;; [unrolled: 1-line block ×13, first 2 shown]
	s_waitcnt vmcnt(15)
	v_and_b32_e32 v46, 0xf0f0f0f, v39
	s_waitcnt vmcnt(14)
	v_and_b32_e32 v47, 0xf0f0f0f, v49
	v_lshrrev_b32_e32 v39, 4, v39
	v_lshrrev_b32_e32 v49, 4, v49
	v_dot4c_i32_i8 v48, v46, v56
	v_dot4c_i32_i8 v124, v47, v57
	v_and_b32_e32 v49, 0xf0f0f0f, v49
	v_cvt_f32_i32_e32 v48, v48
	v_cvt_f32_i32_e32 v124, v124
	s_waitcnt vmcnt(3)
	v_and_b32_e32 v230, 0xf0f0f0f, v231
	s_waitcnt vmcnt(2)
	v_and_b32_e32 v229, 0xf0f0f0f, v232
	v_fma_f32 v48, v2, v48, -v3
	v_fma_f32 v124, v2, v124, -v3
	v_fma_mix_f32 v48, v48, v40, 0 op_sel_hi:[0,1,0]
	v_fma_mix_f32 v124, v124, v40, v48 op_sel_hi:[0,1,0]
	v_and_b32_e32 v48, 0xf0f0f0f, v39
	v_mov_b32_e32 v39, 0
	v_dot4c_i32_i8 v39, v48, v58
	v_cvt_f32_i32_e32 v39, v39
	v_fma_f32 v39, v2, v39, -v3
	v_fma_mix_f32 v39, v39, v40, v124 op_sel_hi:[0,1,0]
	v_mov_b32_e32 v124, 0
	v_dot4c_i32_i8 v124, v49, v59
	v_cvt_f32_i32_e32 v124, v124
	v_fma_f32 v124, v2, v124, -v3
	v_fma_mix_f32 v39, v124, v40, v39 op_sel_hi:[0,1,0]
	v_and_b32_e32 v124, 0xf0f0f0f, v50
	v_lshrrev_b32_e32 v50, 4, v50
	v_dot4c_i32_i8 v125, v124, v60
	v_and_b32_e32 v50, 0xf0f0f0f, v50
	v_cvt_f32_i32_e32 v125, v125
	v_fma_f32 v125, v4, v125, -v5
	v_fma_mix_f32 v39, v125, v41, v39 op_sel_hi:[0,1,0]
	v_and_b32_e32 v125, 0xf0f0f0f, v51
	v_lshrrev_b32_e32 v51, 4, v51
	v_dot4c_i32_i8 v128, v125, v61
	v_and_b32_e32 v51, 0xf0f0f0f, v51
	v_cvt_f32_i32_e32 v128, v128
	v_fma_f32 v128, v4, v128, -v5
	v_fma_mix_f32 v39, v128, v41, v39 op_sel_hi:[0,1,0]
	v_mov_b32_e32 v128, 0
	v_dot4c_i32_i8 v128, v50, v62
	v_cvt_f32_i32_e32 v128, v128
	v_fma_f32 v128, v4, v128, -v5
	v_fma_mix_f32 v39, v128, v41, v39 op_sel_hi:[0,1,0]
	v_mov_b32_e32 v128, 0
	v_dot4c_i32_i8 v128, v51, v63
	v_cvt_f32_i32_e32 v128, v128
	v_fma_f32 v128, v4, v128, -v5
	v_fma_mix_f32 v39, v128, v41, v39 op_sel_hi:[0,1,0]
	v_and_b32_e32 v128, 0xf0f0f0f, v52
	v_lshrrev_b32_e32 v52, 4, v52
	v_dot4c_i32_i8 v129, v128, v64
	v_and_b32_e32 v52, 0xf0f0f0f, v52
	v_cvt_f32_i32_e32 v129, v129
	v_fma_f32 v129, v6, v129, -v7
	v_fma_mix_f32 v39, v129, v42, v39 op_sel_hi:[0,1,0]
	v_and_b32_e32 v129, 0xf0f0f0f, v53
	v_lshrrev_b32_e32 v53, 4, v53
	v_dot4c_i32_i8 v220, v129, v65
	v_and_b32_e32 v53, 0xf0f0f0f, v53
	v_cvt_f32_i32_e32 v220, v220
	v_fma_f32 v220, v6, v220, -v7
	v_fma_mix_f32 v39, v220, v42, v39 op_sel_hi:[0,1,0]
	;; [unrolled: 24-line block ×4, first 2 shown]
	v_mov_b32_e32 v225, 0
	v_dot4c_i32_i8 v225, v218, v74
	v_cvt_f32_i32_e32 v225, v225
	v_fma_f32 v225, v10, v225, -v11
	v_fma_mix_f32 v39, v225, v44, v39 op_sel_hi:[0,1,0]
	v_mov_b32_e32 v225, 0
	v_dot4c_i32_i8 v225, v219, v75
	v_cvt_f32_i32_e32 v225, v225
	v_fma_f32 v225, v10, v225, -v11
	v_fma_mix_f32 v39, v225, v44, v39 op_sel_hi:[0,1,0]
	v_and_b32_e32 v225, 0xf0f0f0f, v224
	v_lshrrev_b32_e32 v224, 4, v224
	v_dot4c_i32_i8 v226, v225, v76
	v_cvt_f32_i32_e32 v226, v226
	v_fma_f32 v226, v12, v226, -v13
	v_fma_mix_f32 v39, v226, v45, v39 op_sel_hi:[0,1,0]
	v_and_b32_e32 v226, 0xf0f0f0f, v228
	v_dot4c_i32_i8 v227, v226, v77
	v_cvt_f32_i32_e32 v227, v227
	v_fma_f32 v227, v12, v227, -v13
	v_fma_mix_f32 v39, v227, v45, v39 op_sel_hi:[0,1,0]
	v_and_b32_e32 v227, 0xf0f0f0f, v224
	v_mov_b32_e32 v224, 0
	v_dot4c_i32_i8 v224, v227, v78
	v_cvt_f32_i32_e32 v224, v224
	v_fma_f32 v224, v12, v224, -v13
	v_fma_mix_f32 v39, v224, v45, v39 op_sel_hi:[0,1,0]
	v_lshrrev_b32_e32 v224, 4, v228
	v_mov_b32_e32 v228, 0
	v_and_b32_e32 v224, 0xf0f0f0f, v224
	v_dot4c_i32_i8 v228, v224, v79
	v_cvt_f32_i32_e32 v228, v228
	v_fma_f32 v228, v12, v228, -v13
	v_fma_mix_f32 v39, v228, v45, v39 op_sel_hi:[0,1,0]
	v_mov_b32_e32 v228, 0
	v_dot4c_i32_i8 v228, v230, v80
	v_cvt_f32_i32_e32 v228, v228
	v_fma_f32 v228, v14, v228, -v15
	v_fma_mix_f32 v39, v228, v36, v39 op_sel_hi:[0,1,0]
	v_mov_b32_e32 v228, 0
	v_dot4c_i32_i8 v228, v229, v81
	v_cvt_f32_i32_e32 v228, v228
	v_fma_f32 v228, v14, v228, -v15
	v_fma_mix_f32 v39, v228, v36, v39 op_sel_hi:[0,1,0]
	v_lshrrev_b32_e32 v228, 4, v231
	v_mov_b32_e32 v231, 0
	v_and_b32_e32 v228, 0xf0f0f0f, v228
	v_dot4c_i32_i8 v231, v228, v82
	v_cvt_f32_i32_e32 v231, v231
	v_fma_f32 v231, v14, v231, -v15
	v_fma_mix_f32 v39, v231, v36, v39 op_sel_hi:[0,1,0]
	v_lshrrev_b32_e32 v231, 4, v232
	v_and_b32_e32 v232, 0xf0f0f0f, v231
	v_mov_b32_e32 v231, 0
	v_dot4c_i32_i8 v231, v232, v83
	v_cvt_f32_i32_e32 v231, v231
	v_fma_f32 v231, v14, v231, -v15
	v_fma_mix_f32 v39, v231, v36, v39 op_sel_hi:[0,1,0]
	s_waitcnt vmcnt(1)
	v_and_b32_e32 v231, 0xf0f0f0f, v234
	v_lshrrev_b32_e32 v234, 4, v234
	v_dot4c_i32_i8 v233, v231, v84
	v_and_b32_e32 v234, 0xf0f0f0f, v234
	v_cvt_f32_i32_e32 v233, v233
	v_fma_f32 v233, v16, v233, -v17
	v_fma_mix_f32 v39, v233, v35, v39 op_sel_hi:[0,1,0]
	s_waitcnt vmcnt(0)
	v_and_b32_e32 v233, 0xf0f0f0f, v34
	v_lshrrev_b32_e32 v34, 4, v34
	v_dot4c_i32_i8 v235, v233, v85
	v_cvt_f32_i32_e32 v235, v235
	v_fma_f32 v235, v16, v235, -v17
	v_fma_mix_f32 v39, v235, v35, v39 op_sel_hi:[0,1,0]
	v_mov_b32_e32 v235, 0
	v_dot4c_i32_i8 v235, v234, v86
	v_cvt_f32_i32_e32 v235, v235
	v_fma_f32 v235, v16, v235, -v17
	v_fma_mix_f32 v39, v235, v35, v39 op_sel_hi:[0,1,0]
	v_and_b32_e32 v235, 0xf0f0f0f, v34
	v_mov_b32_e32 v34, 0
	v_dot4c_i32_i8 v34, v235, v87
	v_cvt_f32_i32_e32 v34, v34
	v_fma_f32 v34, v16, v34, -v17
	v_fma_mix_f32 v34, v34, v35, v39 op_sel_hi:[0,1,0]
	ds_bpermute_b32 v39, v155, v34
	s_waitcnt lgkmcnt(0)
	v_add_f32_e32 v34, v34, v39
                                        ; implicit-def: $vgpr39
	v_cmp_ngt_f32_e64 s15, 0x3f200000, |v34|
	s_and_saveexec_b32 s22, s15
	s_xor_b32 s15, exec_lo, s22
	s_cbranch_execz .LBB31_24
; %bb.23:                               ;   in Loop: Header=BB31_22 Depth=1
	v_add_f32_e64 v39, |v34|, |v34|
	v_mul_f32_e32 v236, 0x3fb8aa3b, v39
	v_cmp_ngt_f32_e32 vcc_lo, 0xc2ce8ed0, v39
	v_rndne_f32_e32 v237, v236
	v_fma_f32 v238, 0x3fb8aa3b, v39, -v236
	v_sub_f32_e32 v236, v236, v237
	v_fmac_f32_e32 v238, 0x32a5705f, v39
	v_cvt_i32_f32_e32 v237, v237
	v_add_f32_e32 v236, v236, v238
	v_exp_f32_e32 v236, v236
	v_ldexp_f32 v236, v236, v237
	v_cndmask_b32_e32 v236, 0, v236, vcc_lo
	v_cmp_nlt_f32_e32 vcc_lo, 0x42b17218, v39
	v_cndmask_b32_e32 v39, 0x7f800000, v236, vcc_lo
	v_add_f32_e32 v39, 1.0, v39
	v_rcp_f32_e32 v39, v39
	v_fma_f32 v39, v39, -2.0, 1.0
.LBB31_24:                              ;   in Loop: Header=BB31_22 Depth=1
	s_andn2_saveexec_b32 s15, s15
	s_cbranch_execz .LBB31_26
; %bb.25:                               ;   in Loop: Header=BB31_22 Depth=1
	v_mul_f32_e32 v39, v34, v34
	v_fmaak_f32 v236, s10, v39, 0x3ca908c9
	v_fmaak_f32 v236, v39, v236, 0xbd5c1c4e
	;; [unrolled: 1-line block ×4, first 2 shown]
	v_mul_f32_e64 v236, |v34|, v236
	v_fma_f32 v39, v39, v236, |v34|
.LBB31_26:                              ;   in Loop: Header=BB31_22 Depth=1
	s_or_b32 exec_lo, exec_lo, s15
	v_bfi_b32 v34, 0x7fffffff, v39, v34
	s_andn2_b32 vcc_lo, exec_lo, s19
	v_mul_f32_e32 v39, s41, v34
	v_lshlrev_b32_e32 v34, 1, v151
	s_cbranch_vccnz .LBB31_28
; %bb.27:                               ;   in Loop: Header=BB31_22 Depth=1
	global_load_ushort v236, v34, s[8:9]
	s_waitcnt vmcnt(0)
	v_fma_mix_f32 v39, v133, v236, v39 op_sel_hi:[0,1,0]
.LBB31_28:                              ;   in Loop: Header=BB31_22 Depth=1
	v_mov_b32_e32 v236, 0
	v_mov_b32_e32 v237, 0
	v_cvt_f32_f16_e32 v40, v40
	v_cvt_f32_f16_e32 v41, v41
	;; [unrolled: 1-line block ×3, first 2 shown]
	v_dot4c_i32_i8 v236, v46, v88
	v_mov_b32_e32 v46, 0
	v_dot4c_i32_i8 v237, v47, v89
	v_cvt_f32_f16_e32 v43, v43
	v_cvt_f32_f16_e32 v44, v44
	v_cvt_f32_i32_e32 v47, v236
	v_mov_b32_e32 v236, 0
	v_dot4c_i32_i8 v46, v48, v90
	v_cvt_f32_i32_e32 v48, v237
	v_mov_b32_e32 v237, 0
	v_fma_f32 v47, v18, v47, -v19
	v_dot4c_i32_i8 v236, v49, v91
	v_cvt_f32_i32_e32 v46, v46
	v_fma_f32 v48, v18, v48, -v19
	v_mov_b32_e32 v49, 0
	v_fma_f32 v47, v47, v40, 0
	v_dot4c_i32_i8 v237, v124, v92
	v_cvt_f32_i32_e32 v124, v236
	v_fma_f32 v46, v18, v46, -v19
	v_dot4c_i32_i8 v49, v125, v93
	v_fmac_f32_e32 v47, v48, v40
	v_mov_b32_e32 v48, 0
	v_cvt_f32_i32_e32 v125, v237
	v_fma_f32 v124, v18, v124, -v19
	v_cvt_f32_i32_e32 v49, v49
	v_fmac_f32_e32 v47, v46, v40
	v_mov_b32_e32 v46, 0
	v_dot4c_i32_i8 v48, v50, v94
	v_fma_f32 v50, v20, v125, -v21
	v_fma_f32 v49, v20, v49, -v21
	v_fmac_f32_e32 v47, v124, v40
	v_mov_b32_e32 v40, 0
	v_dot4c_i32_i8 v46, v51, v95
	v_cvt_f32_i32_e32 v48, v48
	v_cvt_f32_f16_e32 v45, v45
	v_fmac_f32_e32 v47, v50, v41
	v_mov_b32_e32 v50, 0
	v_dot4c_i32_i8 v40, v128, v96
	v_cvt_f32_i32_e32 v46, v46
	v_fma_f32 v48, v20, v48, -v21
	v_fmac_f32_e32 v47, v49, v41
	v_mov_b32_e32 v49, 0
	v_dot4c_i32_i8 v50, v129, v97
	v_cvt_f32_i32_e32 v40, v40
	v_fma_f32 v46, v20, v46, -v21
	;; [unrolled: 5-line block ×14, first 2 shown]
	v_fmac_f32_e32 v47, v40, v44
	v_dot4c_i32_i8 v41, v227, v110
	v_cvt_f32_i32_e32 v40, v42
	v_fma_f32 v42, v28, v43, -v29
	v_mov_b32_e32 v43, 0
	v_fmac_f32_e32 v47, v46, v44
	v_mov_b32_e32 v44, 0
	v_cvt_f32_i32_e32 v41, v41
	v_fma_f32 v40, v28, v40, -v29
	v_dot4c_i32_i8 v43, v224, v111
	v_fmac_f32_e32 v47, v42, v45
	v_dot4c_i32_i8 v44, v230, v112
	v_mov_b32_e32 v42, 0
	v_fma_f32 v41, v28, v41, -v29
	v_cvt_f32_f16_e32 v36, v36
	v_fmac_f32_e32 v47, v40, v45
	v_cvt_f32_i32_e32 v40, v43
	v_cvt_f32_i32_e32 v43, v44
	v_mov_b32_e32 v44, 0
	v_dot4c_i32_i8 v42, v229, v113
	v_fmac_f32_e32 v47, v41, v45
	v_fma_f32 v40, v28, v40, -v29
	v_fma_f32 v41, v30, v43, -v31
	v_mov_b32_e32 v43, 0
	v_dot4c_i32_i8 v44, v228, v114
	v_cvt_f32_i32_e32 v42, v42
	v_fmac_f32_e32 v47, v40, v45
	v_cvt_f32_f16_e32 v35, v35
	v_dot4c_i32_i8 v43, v232, v115
	v_cvt_f32_i32_e32 v40, v44
	v_fma_f32 v42, v30, v42, -v31
	v_fmac_f32_e32 v47, v41, v36
	v_mov_b32_e32 v41, 0
	v_mov_b32_e32 v44, 0
	v_cvt_f32_i32_e32 v43, v43
	v_fma_f32 v40, v30, v40, -v31
	v_fmac_f32_e32 v47, v42, v36
	v_dot4c_i32_i8 v41, v231, v116
	v_mov_b32_e32 v42, 0
	v_dot4c_i32_i8 v44, v233, v117
	v_fma_f32 v43, v30, v43, -v31
	v_fmac_f32_e32 v47, v40, v36
	v_cvt_f32_i32_e32 v40, v41
	v_dot4c_i32_i8 v42, v234, v118
	v_cvt_f32_i32_e32 v41, v44
	v_fmac_f32_e32 v47, v43, v36
	v_fma_f32 v36, v32, v40, -v33
	v_mov_b32_e32 v40, 0
	v_cvt_f32_i32_e32 v42, v42
	v_fma_f32 v41, v32, v41, -v33
	v_fmac_f32_e32 v47, v36, v35
	v_dot4c_i32_i8 v40, v235, v119
	v_fma_f32 v36, v32, v42, -v33
	v_fmac_f32_e32 v47, v41, v35
	v_cvt_f32_i32_e32 v40, v40
	v_fmac_f32_e32 v47, v36, v35
	v_fma_f32 v36, v32, v40, -v33
	v_fmac_f32_e32 v47, v36, v35
                                        ; implicit-def: $vgpr36
	ds_bpermute_b32 v35, v155, v47
	s_waitcnt lgkmcnt(0)
	v_add_f32_e32 v35, v47, v35
	v_cmp_ngt_f32_e64 s15, 0x3f200000, |v35|
	s_and_saveexec_b32 s22, s15
	s_xor_b32 s15, exec_lo, s22
	s_cbranch_execz .LBB31_30
; %bb.29:                               ;   in Loop: Header=BB31_22 Depth=1
	v_add_f32_e64 v36, |v35|, |v35|
	v_mul_f32_e32 v40, 0x3fb8aa3b, v36
	v_cmp_ngt_f32_e32 vcc_lo, 0xc2ce8ed0, v36
	v_rndne_f32_e32 v41, v40
	v_fma_f32 v42, 0x3fb8aa3b, v36, -v40
	v_sub_f32_e32 v40, v40, v41
	v_fmac_f32_e32 v42, 0x32a5705f, v36
	v_cvt_i32_f32_e32 v41, v41
	v_add_f32_e32 v40, v40, v42
	v_exp_f32_e32 v40, v40
	v_ldexp_f32 v40, v40, v41
	v_cndmask_b32_e32 v40, 0, v40, vcc_lo
	v_cmp_nlt_f32_e32 vcc_lo, 0x42b17218, v36
	v_cndmask_b32_e32 v36, 0x7f800000, v40, vcc_lo
	v_add_f32_e32 v36, 1.0, v36
	v_rcp_f32_e32 v36, v36
	v_fma_f32 v36, v36, -2.0, 1.0
.LBB31_30:                              ;   in Loop: Header=BB31_22 Depth=1
	s_andn2_saveexec_b32 s15, s15
	s_cbranch_execz .LBB31_32
; %bb.31:                               ;   in Loop: Header=BB31_22 Depth=1
	v_mul_f32_e32 v36, v35, v35
	v_fmaak_f32 v40, s10, v36, 0x3ca908c9
	v_fmaak_f32 v40, v36, v40, 0xbd5c1c4e
	;; [unrolled: 1-line block ×4, first 2 shown]
	v_mul_f32_e64 v40, |v35|, v40
	v_fma_f32 v36, v36, v40, |v35|
.LBB31_32:                              ;   in Loop: Header=BB31_22 Depth=1
	s_or_b32 exec_lo, exec_lo, s15
	v_bfi_b32 v35, 0x7fffffff, v36, v35
	s_andn2_b32 vcc_lo, exec_lo, s4
	v_mul_f32_e32 v40, s41, v35
	s_cbranch_vccnz .LBB31_34
; %bb.33:                               ;   in Loop: Header=BB31_22 Depth=1
	v_add_co_u32 v35, vcc_lo, s8, v120
	v_add_co_ci_u32_e64 v36, null, s9, v121, vcc_lo
	global_load_ushort v35, v[35:36], off
	s_waitcnt vmcnt(0)
	v_fma_mix_f32 v40, v133, v35, v40 op_sel_hi:[0,1,0]
.LBB31_34:                              ;   in Loop: Header=BB31_22 Depth=1
	v_add_co_u32 v48, vcc_lo, s13, v159
	v_add_co_ci_u32_e64 v49, null, s16, v161, vcc_lo
	v_mov_b32_e32 v228, 0
	v_add_co_u32 v50, vcc_lo, v48, v137
	v_add_co_ci_u32_e64 v51, null, 0, v49, vcc_lo
	s_clause 0x17
	global_load_ushort v42, v[48:49], off
	global_load_ushort v43, v[48:49], off offset:18
	global_load_ushort v44, v[48:49], off offset:36
	;; [unrolled: 1-line block ×7, first 2 shown]
	global_load_dword v52, v[50:51], off offset:2
	global_load_dword v53, v[50:51], off offset:10
	global_load_dword v124, v[50:51], off offset:20
	global_load_dword v125, v[50:51], off offset:28
	global_load_dword v128, v[50:51], off offset:38
	global_load_dword v129, v[50:51], off offset:46
	global_load_dword v220, v[50:51], off offset:56
	global_load_dword v221, v[50:51], off offset:64
	global_load_dword v226, v[50:51], off offset:74
	global_load_dword v227, v[50:51], off offset:82
	global_load_dword v229, v[50:51], off offset:92
	global_load_dword v230, v[50:51], off offset:100
	global_load_dword v233, v[50:51], off offset:110
	global_load_dword v234, v[50:51], off offset:118
	global_load_dword v236, v[50:51], off offset:128
	global_load_dword v41, v[50:51], off offset:136
	v_mov_b32_e32 v50, 0
	v_mov_b32_e32 v51, 0
	;; [unrolled: 1-line block ×6, first 2 shown]
	s_waitcnt vmcnt(15)
	v_and_b32_e32 v48, 0xf0f0f0f, v52
	s_waitcnt vmcnt(14)
	v_and_b32_e32 v49, 0xf0f0f0f, v53
	;; [unrolled: 2-line block ×5, first 2 shown]
	v_dot4c_i32_i8 v50, v48, v56
	v_dot4c_i32_i8 v51, v49, v57
	s_waitcnt vmcnt(10)
	v_and_b32_e32 v219, 0xf0f0f0f, v129
	s_waitcnt vmcnt(9)
	v_and_b32_e32 v222, 0xf0f0f0f, v220
	;; [unrolled: 2-line block ×3, first 2 shown]
	v_cvt_f32_i32_e32 v50, v50
	v_cvt_f32_i32_e32 v51, v51
	s_waitcnt vmcnt(7)
	v_and_b32_e32 v224, 0xf0f0f0f, v226
	s_waitcnt vmcnt(6)
	v_and_b32_e32 v225, 0xf0f0f0f, v227
	s_waitcnt vmcnt(3)
	v_and_b32_e32 v232, 0xf0f0f0f, v233
	v_fma_f32 v50, v2, v50, -v3
	v_fma_f32 v51, v2, v51, -v3
	v_fma_mix_f32 v50, v50, v42, 0 op_sel_hi:[0,1,0]
	v_fma_mix_f32 v51, v51, v42, v50 op_sel_hi:[0,1,0]
	v_lshrrev_b32_e32 v50, 4, v52
	v_mov_b32_e32 v52, 0
	v_and_b32_e32 v50, 0xf0f0f0f, v50
	v_dot4c_i32_i8 v52, v50, v58
	v_cvt_f32_i32_e32 v52, v52
	v_fma_f32 v52, v2, v52, -v3
	v_fma_mix_f32 v52, v52, v42, v51 op_sel_hi:[0,1,0]
	v_lshrrev_b32_e32 v51, 4, v53
	v_mov_b32_e32 v53, 0
	v_and_b32_e32 v51, 0xf0f0f0f, v51
	v_dot4c_i32_i8 v53, v51, v59
	v_cvt_f32_i32_e32 v53, v53
	v_fma_f32 v53, v2, v53, -v3
	v_fma_mix_f32 v52, v53, v42, v52 op_sel_hi:[0,1,0]
	v_mov_b32_e32 v53, 0
	v_dot4c_i32_i8 v53, v126, v60
	v_cvt_f32_i32_e32 v53, v53
	v_fma_f32 v53, v4, v53, -v5
	v_fma_mix_f32 v52, v53, v43, v52 op_sel_hi:[0,1,0]
	v_mov_b32_e32 v53, 0
	v_dot4c_i32_i8 v53, v127, v61
	v_cvt_f32_i32_e32 v53, v53
	v_fma_f32 v53, v4, v53, -v5
	v_fma_mix_f32 v53, v53, v43, v52 op_sel_hi:[0,1,0]
	v_lshrrev_b32_e32 v52, 4, v124
	v_mov_b32_e32 v124, 0
	v_and_b32_e32 v52, 0xf0f0f0f, v52
	v_dot4c_i32_i8 v124, v52, v62
	v_cvt_f32_i32_e32 v124, v124
	v_fma_f32 v124, v4, v124, -v5
	v_fma_mix_f32 v124, v124, v43, v53 op_sel_hi:[0,1,0]
	v_lshrrev_b32_e32 v53, 4, v125
	v_mov_b32_e32 v125, 0
	v_and_b32_e32 v53, 0xf0f0f0f, v53
	v_dot4c_i32_i8 v125, v53, v63
	v_cvt_f32_i32_e32 v125, v125
	v_fma_f32 v125, v4, v125, -v5
	v_fma_mix_f32 v124, v125, v43, v124 op_sel_hi:[0,1,0]
	v_mov_b32_e32 v125, 0
	v_dot4c_i32_i8 v125, v218, v64
	v_cvt_f32_i32_e32 v125, v125
	v_fma_f32 v125, v6, v125, -v7
	v_fma_mix_f32 v124, v125, v44, v124 op_sel_hi:[0,1,0]
	v_mov_b32_e32 v125, 0
	v_dot4c_i32_i8 v125, v219, v65
	v_cvt_f32_i32_e32 v125, v125
	v_fma_f32 v125, v6, v125, -v7
	;; [unrolled: 24-line block ×4, first 2 shown]
	v_fma_mix_f32 v221, v221, v46, v220 op_sel_hi:[0,1,0]
	v_lshrrev_b32_e32 v220, 4, v226
	v_mov_b32_e32 v226, 0
	v_and_b32_e32 v220, 0xf0f0f0f, v220
	v_dot4c_i32_i8 v226, v220, v74
	v_cvt_f32_i32_e32 v226, v226
	v_fma_f32 v226, v10, v226, -v11
	v_fma_mix_f32 v226, v226, v46, v221 op_sel_hi:[0,1,0]
	v_lshrrev_b32_e32 v221, 4, v227
	v_mov_b32_e32 v227, 0
	v_and_b32_e32 v221, 0xf0f0f0f, v221
	v_dot4c_i32_i8 v227, v221, v75
	v_cvt_f32_i32_e32 v227, v227
	v_fma_f32 v227, v10, v227, -v11
	v_fma_mix_f32 v226, v227, v46, v226 op_sel_hi:[0,1,0]
	v_and_b32_e32 v227, 0xf0f0f0f, v229
	v_lshrrev_b32_e32 v229, 4, v229
	v_dot4c_i32_i8 v228, v227, v76
	v_and_b32_e32 v229, 0xf0f0f0f, v229
	v_cvt_f32_i32_e32 v228, v228
	v_fma_f32 v228, v12, v228, -v13
	v_fma_mix_f32 v226, v228, v47, v226 op_sel_hi:[0,1,0]
	v_and_b32_e32 v228, 0xf0f0f0f, v230
	v_dot4c_i32_i8 v231, v228, v77
	v_cvt_f32_i32_e32 v231, v231
	v_fma_f32 v231, v12, v231, -v13
	v_fma_mix_f32 v226, v231, v47, v226 op_sel_hi:[0,1,0]
	v_mov_b32_e32 v231, 0
	v_dot4c_i32_i8 v231, v229, v78
	v_cvt_f32_i32_e32 v231, v231
	v_fma_f32 v231, v12, v231, -v13
	v_fma_mix_f32 v231, v231, v47, v226 op_sel_hi:[0,1,0]
	v_lshrrev_b32_e32 v226, 4, v230
	v_mov_b32_e32 v230, 0
	v_and_b32_e32 v226, 0xf0f0f0f, v226
	v_dot4c_i32_i8 v230, v226, v79
	v_cvt_f32_i32_e32 v230, v230
	v_fma_f32 v230, v12, v230, -v13
	v_fma_mix_f32 v230, v230, v47, v231 op_sel_hi:[0,1,0]
	v_mov_b32_e32 v231, 0
	v_dot4c_i32_i8 v231, v232, v80
	v_cvt_f32_i32_e32 v231, v231
	v_fma_f32 v231, v14, v231, -v15
	v_fma_mix_f32 v230, v231, v36, v230 op_sel_hi:[0,1,0]
	s_waitcnt vmcnt(2)
	v_and_b32_e32 v231, 0xf0f0f0f, v234
	v_lshrrev_b32_e32 v234, 4, v234
	v_dot4c_i32_i8 v235, v231, v81
	v_and_b32_e32 v234, 0xf0f0f0f, v234
	v_cvt_f32_i32_e32 v235, v235
	v_fma_f32 v235, v14, v235, -v15
	v_fma_mix_f32 v235, v235, v36, v230 op_sel_hi:[0,1,0]
	v_lshrrev_b32_e32 v230, 4, v233
	v_mov_b32_e32 v233, 0
	v_and_b32_e32 v230, 0xf0f0f0f, v230
	v_dot4c_i32_i8 v233, v230, v82
	v_cvt_f32_i32_e32 v233, v233
	v_fma_f32 v233, v14, v233, -v15
	v_fma_mix_f32 v233, v233, v36, v235 op_sel_hi:[0,1,0]
	v_mov_b32_e32 v235, 0
	v_dot4c_i32_i8 v235, v234, v83
	v_cvt_f32_i32_e32 v235, v235
	v_fma_f32 v235, v14, v235, -v15
	v_fma_mix_f32 v235, v235, v36, v233 op_sel_hi:[0,1,0]
	s_waitcnt vmcnt(1)
	v_and_b32_e32 v233, 0xf0f0f0f, v236
	v_lshrrev_b32_e32 v236, 4, v236
	v_dot4c_i32_i8 v237, v233, v84
	v_and_b32_e32 v236, 0xf0f0f0f, v236
	v_cvt_f32_i32_e32 v237, v237
	v_fma_f32 v237, v16, v237, -v17
	v_fma_mix_f32 v237, v237, v35, v235 op_sel_hi:[0,1,0]
	s_waitcnt vmcnt(0)
	v_and_b32_e32 v235, 0xf0f0f0f, v41
	v_lshrrev_b32_e32 v41, 4, v41
	v_dot4c_i32_i8 v238, v235, v85
	v_cvt_f32_i32_e32 v238, v238
	v_fma_f32 v238, v16, v238, -v17
	v_fma_mix_f32 v237, v238, v35, v237 op_sel_hi:[0,1,0]
	v_mov_b32_e32 v238, 0
	v_dot4c_i32_i8 v238, v236, v86
	v_cvt_f32_i32_e32 v238, v238
	v_fma_f32 v238, v16, v238, -v17
	v_fma_mix_f32 v238, v238, v35, v237 op_sel_hi:[0,1,0]
	v_and_b32_e32 v237, 0xf0f0f0f, v41
	v_mov_b32_e32 v41, 0
	v_dot4c_i32_i8 v41, v237, v87
	v_cvt_f32_i32_e32 v41, v41
	v_fma_f32 v41, v16, v41, -v17
	v_fma_mix_f32 v41, v41, v35, v238 op_sel_hi:[0,1,0]
	ds_bpermute_b32 v238, v155, v41
	s_waitcnt lgkmcnt(0)
	v_add_f32_e32 v41, v41, v238
                                        ; implicit-def: $vgpr238
	v_cmp_ngt_f32_e64 s15, 0x3f200000, |v41|
	s_and_saveexec_b32 s22, s15
	s_xor_b32 s15, exec_lo, s22
	s_cbranch_execz .LBB31_36
; %bb.35:                               ;   in Loop: Header=BB31_22 Depth=1
	v_add_f32_e64 v238, |v41|, |v41|
	v_mul_f32_e32 v239, 0x3fb8aa3b, v238
	v_cmp_ngt_f32_e32 vcc_lo, 0xc2ce8ed0, v238
	v_rndne_f32_e32 v240, v239
	v_fma_f32 v241, 0x3fb8aa3b, v238, -v239
	v_sub_f32_e32 v239, v239, v240
	v_fmac_f32_e32 v241, 0x32a5705f, v238
	v_cvt_i32_f32_e32 v240, v240
	v_add_f32_e32 v239, v239, v241
	v_exp_f32_e32 v239, v239
	v_ldexp_f32 v239, v239, v240
	v_cndmask_b32_e32 v239, 0, v239, vcc_lo
	v_cmp_nlt_f32_e32 vcc_lo, 0x42b17218, v238
	v_cndmask_b32_e32 v238, 0x7f800000, v239, vcc_lo
	v_add_f32_e32 v238, 1.0, v238
	v_rcp_f32_e32 v238, v238
	v_fma_f32 v238, v238, -2.0, 1.0
.LBB31_36:                              ;   in Loop: Header=BB31_22 Depth=1
	s_andn2_saveexec_b32 s15, s15
	s_cbranch_execz .LBB31_38
; %bb.37:                               ;   in Loop: Header=BB31_22 Depth=1
	v_mul_f32_e32 v238, v41, v41
	v_fmaak_f32 v239, s10, v238, 0x3ca908c9
	v_fmaak_f32 v239, v238, v239, 0xbd5c1c4e
	;; [unrolled: 1-line block ×4, first 2 shown]
	v_mul_f32_e64 v239, |v41|, v239
	v_fma_f32 v238, v238, v239, |v41|
.LBB31_38:                              ;   in Loop: Header=BB31_22 Depth=1
	s_or_b32 exec_lo, exec_lo, s15
	v_bfi_b32 v41, 0x7fffffff, v238, v41
	s_andn2_b32 vcc_lo, exec_lo, s19
	v_mul_f32_e32 v41, s41, v41
	s_cbranch_vccnz .LBB31_40
; %bb.39:                               ;   in Loop: Header=BB31_22 Depth=1
	global_load_ushort v34, v34, s[8:9] offset:2
	s_waitcnt vmcnt(0)
	v_fma_mix_f32 v41, v133, v34, v41 op_sel_hi:[0,1,0]
.LBB31_40:                              ;   in Loop: Header=BB31_22 Depth=1
	v_mov_b32_e32 v34, 0
	v_mov_b32_e32 v238, 0
	v_cvt_f32_f16_e32 v42, v42
	v_cvt_f32_f16_e32 v43, v43
	;; [unrolled: 1-line block ×3, first 2 shown]
	v_dot4c_i32_i8 v34, v48, v88
	v_mov_b32_e32 v48, 0
	v_dot4c_i32_i8 v238, v49, v89
	v_mov_b32_e32 v49, 0
	v_cvt_f32_f16_e32 v45, v45
	v_cvt_f32_i32_e32 v34, v34
	v_dot4c_i32_i8 v48, v50, v90
	v_cvt_f32_i32_e32 v50, v238
	v_mov_b32_e32 v238, 0
	v_dot4c_i32_i8 v49, v51, v91
	v_fma_f32 v34, v18, v34, -v19
	v_cvt_f32_i32_e32 v48, v48
	v_fma_f32 v50, v18, v50, -v19
	v_mov_b32_e32 v51, 0
	v_dot4c_i32_i8 v238, v126, v92
	v_fma_f32 v34, v34, v42, 0
	v_cvt_f32_i32_e32 v49, v49
	v_fma_f32 v48, v18, v48, -v19
	v_dot4c_i32_i8 v51, v127, v93
	v_cvt_f32_i32_e32 v126, v238
	v_fmac_f32_e32 v34, v50, v42
	v_mov_b32_e32 v50, 0
	v_fma_f32 v49, v18, v49, -v19
	v_cvt_f32_i32_e32 v51, v51
	v_cvt_f32_f16_e32 v46, v46
	v_fmac_f32_e32 v34, v48, v42
	v_mov_b32_e32 v48, 0
	v_dot4c_i32_i8 v50, v52, v94
	v_fma_f32 v52, v20, v126, -v21
	v_cvt_f32_f16_e32 v47, v47
	v_fmac_f32_e32 v34, v49, v42
	v_mov_b32_e32 v42, 0
	v_dot4c_i32_i8 v48, v53, v95
	v_cvt_f32_i32_e32 v49, v50
	v_fma_f32 v50, v20, v51, -v21
	v_fmac_f32_e32 v34, v52, v43
	v_mov_b32_e32 v51, 0
	v_dot4c_i32_i8 v42, v218, v96
	v_cvt_f32_i32_e32 v48, v48
	v_fma_f32 v49, v20, v49, -v21
	;; [unrolled: 5-line block ×15, first 2 shown]
	v_fmac_f32_e32 v34, v42, v46
	v_dot4c_i32_i8 v43, v229, v110
	v_cvt_f32_i32_e32 v42, v44
	v_fma_f32 v44, v28, v45, -v29
	v_mov_b32_e32 v45, 0
	v_fmac_f32_e32 v34, v48, v46
	v_mov_b32_e32 v46, 0
	v_cvt_f32_i32_e32 v43, v43
	v_fma_f32 v42, v28, v42, -v29
	v_dot4c_i32_i8 v45, v226, v111
	v_fmac_f32_e32 v34, v44, v47
	v_dot4c_i32_i8 v46, v232, v112
	v_mov_b32_e32 v44, 0
	v_fma_f32 v43, v28, v43, -v29
	v_cvt_f32_f16_e32 v36, v36
	v_fmac_f32_e32 v34, v42, v47
	v_cvt_f32_i32_e32 v42, v45
	v_cvt_f32_i32_e32 v45, v46
	v_mov_b32_e32 v46, 0
	v_dot4c_i32_i8 v44, v231, v113
	v_fmac_f32_e32 v34, v43, v47
	v_fma_f32 v42, v28, v42, -v29
	v_fma_f32 v43, v30, v45, -v31
	v_mov_b32_e32 v45, 0
	v_dot4c_i32_i8 v46, v230, v114
	v_cvt_f32_i32_e32 v44, v44
	v_fmac_f32_e32 v34, v42, v47
	v_cvt_f32_f16_e32 v35, v35
	v_dot4c_i32_i8 v45, v234, v115
	v_cvt_f32_i32_e32 v42, v46
	v_fma_f32 v44, v30, v44, -v31
	v_fmac_f32_e32 v34, v43, v36
	v_mov_b32_e32 v43, 0
	v_mov_b32_e32 v46, 0
	v_cvt_f32_i32_e32 v45, v45
	v_fma_f32 v42, v30, v42, -v31
	v_fmac_f32_e32 v34, v44, v36
	v_dot4c_i32_i8 v43, v233, v116
	v_mov_b32_e32 v44, 0
	v_dot4c_i32_i8 v46, v235, v117
	v_fma_f32 v45, v30, v45, -v31
	v_fmac_f32_e32 v34, v42, v36
	v_cvt_f32_i32_e32 v42, v43
	v_dot4c_i32_i8 v44, v236, v118
	v_cvt_f32_i32_e32 v43, v46
	v_fmac_f32_e32 v34, v45, v36
	v_fma_f32 v36, v32, v42, -v33
	v_mov_b32_e32 v42, 0
	v_cvt_f32_i32_e32 v44, v44
	v_fma_f32 v43, v32, v43, -v33
	v_fmac_f32_e32 v34, v36, v35
	v_dot4c_i32_i8 v42, v237, v119
	v_fma_f32 v36, v32, v44, -v33
	v_fmac_f32_e32 v34, v43, v35
	v_cvt_f32_i32_e32 v42, v42
	v_fmac_f32_e32 v34, v36, v35
	v_fma_f32 v36, v32, v42, -v33
	v_fmac_f32_e32 v34, v36, v35
	ds_bpermute_b32 v35, v155, v34
	s_waitcnt lgkmcnt(0)
	v_add_f32_e32 v34, v34, v35
                                        ; implicit-def: $vgpr35
	v_cmp_ngt_f32_e64 s15, 0x3f200000, |v34|
	s_and_saveexec_b32 s22, s15
	s_xor_b32 s15, exec_lo, s22
	s_cbranch_execz .LBB31_42
; %bb.41:                               ;   in Loop: Header=BB31_22 Depth=1
	v_add_f32_e64 v35, |v34|, |v34|
	v_mul_f32_e32 v36, 0x3fb8aa3b, v35
	v_cmp_ngt_f32_e32 vcc_lo, 0xc2ce8ed0, v35
	v_rndne_f32_e32 v42, v36
	v_fma_f32 v43, 0x3fb8aa3b, v35, -v36
	v_sub_f32_e32 v36, v36, v42
	v_fmac_f32_e32 v43, 0x32a5705f, v35
	v_cvt_i32_f32_e32 v42, v42
	v_add_f32_e32 v36, v36, v43
	v_exp_f32_e32 v36, v36
	v_ldexp_f32 v36, v36, v42
	v_cndmask_b32_e32 v36, 0, v36, vcc_lo
	v_cmp_nlt_f32_e32 vcc_lo, 0x42b17218, v35
	v_cndmask_b32_e32 v35, 0x7f800000, v36, vcc_lo
	v_add_f32_e32 v35, 1.0, v35
	v_rcp_f32_e32 v35, v35
	v_fma_f32 v35, v35, -2.0, 1.0
.LBB31_42:                              ;   in Loop: Header=BB31_22 Depth=1
	s_andn2_saveexec_b32 s15, s15
	s_cbranch_execz .LBB31_44
; %bb.43:                               ;   in Loop: Header=BB31_22 Depth=1
	v_mul_f32_e32 v35, v34, v34
	v_fmaak_f32 v36, s10, v35, 0x3ca908c9
	v_fmaak_f32 v36, v35, v36, 0xbd5c1c4e
	;; [unrolled: 1-line block ×4, first 2 shown]
	v_mul_f32_e64 v36, |v34|, v36
	v_fma_f32 v35, v35, v36, |v34|
.LBB31_44:                              ;   in Loop: Header=BB31_22 Depth=1
	s_or_b32 exec_lo, exec_lo, s15
	v_bfi_b32 v34, 0x7fffffff, v35, v34
	s_andn2_b32 vcc_lo, exec_lo, s4
	v_mul_f32_e32 v42, s41, v34
	s_cbranch_vccnz .LBB31_21
; %bb.45:                               ;   in Loop: Header=BB31_22 Depth=1
	v_add_co_u32 v34, vcc_lo, s8, v122
	v_add_co_ci_u32_e64 v35, null, s9, v123, vcc_lo
	global_load_ushort v34, v[34:35], off offset:2
	s_waitcnt vmcnt(0)
	v_fma_mix_f32 v42, v133, v34, v42 op_sel_hi:[0,1,0]
	s_branch .LBB31_21
.LBB31_46:
	s_cmp_eq_u64 s[20:21], 0
	s_cselect_b32 s1, -1, 0
	s_cmp_lg_u32 s34, 0
	s_cselect_b32 s2, -1, 0
	s_or_b32 s1, s2, s1
	s_nor_b32 s0, s1, s0
	s_and_saveexec_b32 s1, s0
	s_cbranch_execz .LBB31_48
; %bb.47:
	s_ashr_i32 s39, s38, 31
	v_cmp_eq_u32_e32 vcc_lo, 1, v1
	s_lshl_b64 s[2:3], s[38:39], 2
	v_lshl_add_u32 v11, v1, 4, v135
	s_add_u32 s2, s20, s2
	s_addc_u32 s3, s21, s3
	v_cndmask_b32_e32 v2, v124, v125, vcc_lo
	s_load_dword s0, s[2:3], 0x0
	v_max_f32_e32 v3, v2, v2
	s_waitcnt lgkmcnt(0)
	v_max_f32_e64 v4, s0, s0
	v_max_f32_e32 v6, v3, v4
	v_sub_f32_e32 v7, v2, v6
	v_sub_f32_e32 v8, s0, v6
	v_cndmask_b32_e32 v125, v125, v6, vcc_lo
	v_mul_f32_e32 v2, 0x3fb8aa3b, v7
	v_mul_f32_e32 v3, 0x3fb8aa3b, v8
	v_cmp_ngt_f32_e64 s0, 0xc2ce8ed0, v7
	v_fma_f32 v4, 0x3fb8aa3b, v7, -v2
	v_rndne_f32_e32 v5, v2
	v_fma_f32 v9, 0x3fb8aa3b, v8, -v3
	v_rndne_f32_e32 v10, v3
	v_fmac_f32_e32 v4, 0x32a5705f, v7
	v_sub_f32_e32 v2, v2, v5
	v_fmac_f32_e32 v9, 0x32a5705f, v8
	v_sub_f32_e32 v3, v3, v10
	v_cvt_i32_f32_e32 v10, v10
	v_add_f32_e32 v2, v2, v4
	v_add_f32_e32 v3, v3, v9
	v_exp_f32_e32 v2, v2
	v_exp_f32_e32 v9, v3
	v_cvt_i32_f32_e32 v3, v5
	v_ldexp_f32 v12, v2, v3
	ds_read_b128 v[2:5], v11
	v_ldexp_f32 v9, v9, v10
	v_cndmask_b32_e64 v10, 0, v12, s0
	v_cmp_ngt_f32_e64 s0, 0xc2ce8ed0, v8
	v_cndmask_b32_e32 v12, v54, v55, vcc_lo
	v_cndmask_b32_e64 v9, 0, v9, s0
	v_cmp_nlt_f32_e64 s0, 0x42b17218, v7
	v_cndmask_b32_e64 v7, 0x7f800000, v10, s0
	v_cmp_nlt_f32_e64 s0, 0x42b17218, v8
	v_mov_b32_e32 v10, 0x10001
	v_cndmask_b32_e64 v8, 0x7f800000, v9, s0
	v_cmp_eq_u32_e64 s0, 0, v0
	v_cvt_f16_f32_e32 v9, v7
	v_cndmask_b32_e64 v8, 0, v8, s0
	v_mul_u32_u24_sdwa v9, v9, v10 dst_sel:DWORD dst_unused:UNUSED_PAD src0_sel:WORD_0 src1_sel:DWORD
	v_cmp_eq_u32_e64 s0, 0, v1
	v_fmac_f32_e32 v8, v12, v7
	s_waitcnt lgkmcnt(0)
	v_pk_mul_f16 v2, v2, v9
	v_cndmask_b32_e64 v124, v124, v6, s0
	v_pk_mul_f16 v3, v3, v9
	v_pk_mul_f16 v4, v4, v9
	;; [unrolled: 1-line block ×3, first 2 shown]
	v_cndmask_b32_e32 v55, v55, v8, vcc_lo
	v_cndmask_b32_e64 v54, v54, v8, s0
	ds_write_b128 v11, v[2:5]
.LBB31_48:
	s_or_b32 exec_lo, exec_lo, s1
	v_add_nc_u32_e32 v4, 0x900, v131
	v_or_b32_e32 v10, 0x800, v131
	s_mov_b32 s0, exec_lo
	v_cmpx_eq_u32_e32 0, v1
	s_cbranch_execz .LBB31_50
; %bb.49:
	v_mov_b32_e32 v2, 0xfeffffff
	v_mov_b32_e32 v3, 0
	ds_write2_b32 v10, v2, v2 offset1:32
	ds_write2_b32 v4, v3, v3 offset1:32
.LBB31_50:
	s_or_b32 exec_lo, exec_lo, s0
	v_cmp_eq_u32_e64 s0, 0, v0
	s_waitcnt lgkmcnt(0)
	s_barrier
	buffer_gl0_inv
	s_and_saveexec_b32 s1, s0
; %bb.51:
	v_lshlrev_b32_e32 v2, 2, v1
	v_add_nc_u32_e32 v2, 0x800, v2
	ds_write2_b32 v2, v124, v125 offset1:32
; %bb.52:
	s_or_b32 exec_lo, exec_lo, s1
	s_cmp_lt_i32 s35, s36
	s_waitcnt lgkmcnt(0)
	s_barrier
	buffer_gl0_inv
	s_cbranch_scc1 .LBB31_54
; %bb.53:
	s_load_dword s3, s[6:7], 0xd4
	s_cbranch_execz .LBB31_55
	s_branch .LBB31_62
.LBB31_54:
                                        ; implicit-def: $sgpr3
.LBB31_55:
	ds_read_b32 v2, v10
	v_xor_b32_e32 v3, 16, v136
	v_xor_b32_e32 v6, 8, v136
	;; [unrolled: 1-line block ×4, first 2 shown]
	s_waitcnt lgkmcnt(0)
	s_load_dword s3, s[6:7], 0xd4
	v_cmp_gt_i32_e32 vcc_lo, 32, v3
	v_lshlrev_b32_e32 v21, 3, v0
	v_lshl_add_u32 v1, v1, 2, 0x900
	v_cndmask_b32_e32 v3, v136, v3, vcc_lo
	v_cmp_gt_i32_e32 vcc_lo, 32, v6
	v_lshlrev_b32_e32 v5, 2, v3
	v_cndmask_b32_e32 v6, v136, v6, vcc_lo
	v_cmp_gt_i32_e32 vcc_lo, 32, v7
	ds_bpermute_b32 v3, v5, v2
	v_max_f32_e32 v2, v2, v2
	v_lshlrev_b32_e32 v6, 2, v6
	v_cndmask_b32_e32 v7, v136, v7, vcc_lo
	v_cmp_gt_i32_e32 vcc_lo, 32, v8
	v_lshlrev_b32_e32 v7, 2, v7
	v_cndmask_b32_e32 v8, v136, v8, vcc_lo
	v_lshlrev_b32_e32 v9, 2, v8
	v_xor_b32_e32 v8, 1, v136
	v_cmp_gt_i32_e32 vcc_lo, 32, v8
	s_waitcnt lgkmcnt(0)
	v_max_f32_e32 v3, v3, v3
	v_cndmask_b32_e32 v8, v136, v8, vcc_lo
	v_max_f32_e32 v2, v2, v3
	v_lshlrev_b32_e32 v8, 2, v8
	ds_bpermute_b32 v3, v6, v2
	s_waitcnt lgkmcnt(0)
	v_max_f32_e32 v3, v3, v3
	v_max_f32_e32 v2, v2, v3
	ds_bpermute_b32 v3, v7, v2
	s_waitcnt lgkmcnt(0)
	v_max_f32_e32 v3, v3, v3
	v_max_f32_e32 v2, v2, v3
	;; [unrolled: 4-line block ×4, first 2 shown]
	v_sub_f32_e32 v3, v124, v2
	v_mul_f32_e32 v11, 0x3fb8aa3b, v3
	v_cmp_ngt_f32_e32 vcc_lo, 0xc2ce8ed0, v3
	v_fma_f32 v12, 0x3fb8aa3b, v3, -v11
	v_rndne_f32_e32 v13, v11
	v_fmamk_f32 v12, v3, 0x32a5705f, v12
	v_sub_f32_e32 v11, v11, v13
	v_add_f32_e32 v11, v11, v12
	v_cvt_i32_f32_e32 v12, v13
	v_exp_f32_e32 v11, v11
	v_ldexp_f32 v11, v11, v12
	v_cndmask_b32_e32 v11, 0, v11, vcc_lo
	v_cmp_nlt_f32_e32 vcc_lo, 0x42b17218, v3
	v_cndmask_b32_e32 v3, 0x7f800000, v11, vcc_lo
	v_mul_f32_e32 v11, v3, v54
	ds_bpermute_b32 v11, v5, v11
	s_waitcnt lgkmcnt(0)
	v_fmac_f32_e32 v11, v3, v54
	v_cvt_f16_f32_e32 v3, v3
	ds_bpermute_b32 v12, v6, v11
	s_waitcnt lgkmcnt(0)
	v_add_f32_e32 v11, v11, v12
	ds_bpermute_b32 v12, v7, v11
	s_waitcnt lgkmcnt(0)
	v_add_f32_e32 v15, v11, v12
	ds_read_b128 v[11:14], v135
	ds_bpermute_b32 v16, v9, v15
	s_waitcnt lgkmcnt(0)
	v_add_f32_e32 v19, v15, v16
	v_mov_b32_e32 v15, 0x10001
	ds_bpermute_b32 v20, v8, v19
	v_mul_u32_u24_sdwa v3, v3, v15 dst_sel:DWORD dst_unused:UNUSED_PAD src0_sel:WORD_0 src1_sel:DWORD
	v_pk_mul_f16 v15, v11, v3
	v_pk_mul_f16 v16, v12, v3
	;; [unrolled: 1-line block ×4, first 2 shown]
	v_add_nc_u32_e32 v11, v130, v21
	ds_write_b128 v135, v[15:18]
	ds_write2_b64 v11, v[15:16], v[17:18] offset1:32
	s_waitcnt lgkmcnt(2)
	v_add_f32_e32 v3, v19, v20
	s_and_saveexec_b32 s1, s0
; %bb.56:
	ds_write_b32 v1, v3
; %bb.57:
	s_or_b32 exec_lo, exec_lo, s1
	s_waitcnt lgkmcnt(0)
	s_barrier
	buffer_gl0_inv
	ds_read_b32 v3, v4
	ds_read_u16 v12, v134
	ds_read_u16 v13, v134 offset:1280
	ds_read_u16 v14, v134 offset:768
	;; [unrolled: 1-line block ×6, first 2 shown]
	s_cmp_eq_u32 s3, 1
	s_mul_i32 s4, s33, s36
	s_cselect_b32 s1, -1, 0
	s_add_i32 s4, s4, s35
	s_mul_i32 s4, s4, s37
	s_add_i32 s4, s4, s38
	s_mul_i32 s5, s3, s4
	s_add_i32 s5, s5, s34
	s_waitcnt lgkmcnt(7)
	ds_bpermute_b32 v16, v5, v3
	s_waitcnt lgkmcnt(7)
	v_cvt_f32_f16_e32 v12, v12
	s_waitcnt lgkmcnt(6)
	v_cvt_f32_f16_e32 v13, v13
	;; [unrolled: 2-line block ×5, first 2 shown]
	v_add_f32_e32 v12, 0, v12
	v_cvt_f32_f16_e32 v15, v15
	v_add_f32_e32 v12, v12, v17
	ds_read_u16 v17, v134 offset:1792
	v_add_f32_e32 v12, v12, v18
	s_waitcnt lgkmcnt(1)
	v_add_f32_e32 v3, v3, v16
	v_add_f32_e32 v18, v12, v19
	;; [unrolled: 1-line block ×3, first 2 shown]
	ds_bpermute_b32 v16, v6, v3
	s_waitcnt lgkmcnt(1)
	v_cvt_f32_f16_e32 v15, v17
	s_waitcnt lgkmcnt(0)
	v_add_f32_e32 v3, v3, v16
	ds_bpermute_b32 v16, v7, v3
	s_waitcnt lgkmcnt(0)
	v_add_f32_e32 v3, v3, v16
	ds_bpermute_b32 v16, v9, v3
	;; [unrolled: 3-line block ×3, first 2 shown]
	s_waitcnt lgkmcnt(0)
	v_add_f32_e32 v54, v3, v16
	v_cvt_f32_f16_e32 v3, v14
	v_div_scale_f32 v14, null, v54, v54, v18
	v_add_f32_e32 v3, v12, v3
	v_div_scale_f32 v16, vcc_lo, v18, v54, v18
	v_rcp_f32_e32 v12, v14
	v_add_f32_e32 v3, v3, v13
	v_add_f32_e32 v3, v3, v15
	v_fma_f32 v13, -v14, v12, 1.0
	v_div_scale_f32 v15, null, v54, v54, v3
	v_fmac_f32_e32 v12, v13, v12
	v_rcp_f32_e32 v17, v15
	v_mul_f32_e32 v13, v16, v12
	v_fma_f32 v19, -v14, v13, v16
	v_fma_f32 v20, -v15, v17, 1.0
	v_fmac_f32_e32 v13, v19, v12
	v_div_scale_f32 v19, s2, v3, v54, v3
	v_fmac_f32_e32 v17, v20, v17
	v_fma_f32 v14, -v14, v13, v16
	v_mul_f32_e32 v16, v19, v17
	v_div_fmas_f32 v12, v14, v12, v13
	s_mov_b32 vcc_lo, s2
	s_or_b32 s2, s35, 1
	v_fma_f32 v13, -v15, v16, v19
	s_cmp_ge_i32 s2, s36
	v_div_fixup_f32 v14, v12, v54, v18
	v_lshl_or_b32 v12, s5, 8, v132
	v_fmac_f32_e32 v16, v13, v17
	v_mov_b32_e32 v13, 0
	v_cndmask_b32_e64 v14, v18, v14, s1
	v_fma_f32 v15, -v15, v16, v19
	v_lshlrev_b64 v[12:13], 2, v[12:13]
	v_div_fmas_f32 v15, v15, v17, v16
	v_add_co_u32 v12, vcc_lo, s24, v12
	v_add_co_ci_u32_e64 v13, null, s25, v13, vcc_lo
	v_div_fixup_f32 v15, v15, v54, v3
	v_cndmask_b32_e64 v15, v3, v15, s1
	v_mov_b32_e32 v3, v125
	global_store_dword v[12:13], v14, off
	global_store_dword v[12:13], v15, off offset:512
	s_waitcnt_vscnt null, 0x0
	s_barrier
	buffer_gl0_inv
	s_cbranch_scc1 .LBB31_61
; %bb.58:
	ds_read_b32 v3, v10 offset:128
	v_mov_b32_e32 v18, 0x10001
	s_waitcnt lgkmcnt(0)
	ds_bpermute_b32 v10, v5, v3
	v_max_f32_e32 v3, v3, v3
	s_waitcnt lgkmcnt(0)
	v_max_f32_e32 v10, v10, v10
	v_max_f32_e32 v3, v3, v10
	ds_bpermute_b32 v10, v6, v3
	s_waitcnt lgkmcnt(0)
	v_max_f32_e32 v10, v10, v10
	v_max_f32_e32 v3, v3, v10
	ds_bpermute_b32 v10, v7, v3
	;; [unrolled: 4-line block ×4, first 2 shown]
	s_waitcnt lgkmcnt(0)
	v_max_f32_e32 v10, v10, v10
	v_max_f32_e32 v3, v3, v10
	v_sub_f32_e32 v10, v125, v3
	v_mul_f32_e32 v12, 0x3fb8aa3b, v10
	v_cmp_ngt_f32_e32 vcc_lo, 0xc2ce8ed0, v10
	v_fma_f32 v13, 0x3fb8aa3b, v10, -v12
	v_rndne_f32_e32 v14, v12
	v_fmamk_f32 v13, v10, 0x32a5705f, v13
	v_sub_f32_e32 v12, v12, v14
	v_add_f32_e32 v12, v12, v13
	v_cvt_i32_f32_e32 v13, v14
	v_exp_f32_e32 v12, v12
	v_ldexp_f32 v12, v12, v13
	v_cndmask_b32_e32 v12, 0, v12, vcc_lo
	v_cmp_nlt_f32_e32 vcc_lo, 0x42b17218, v10
	v_cndmask_b32_e32 v10, 0x7f800000, v12, vcc_lo
	v_mul_f32_e32 v12, v10, v55
	ds_bpermute_b32 v12, v5, v12
	s_waitcnt lgkmcnt(0)
	v_fmac_f32_e32 v12, v10, v55
	v_cvt_f16_f32_e32 v10, v10
	ds_bpermute_b32 v13, v6, v12
	v_mul_u32_u24_sdwa v10, v10, v18 dst_sel:DWORD dst_unused:UNUSED_PAD src0_sel:WORD_0 src1_sel:DWORD
	s_waitcnt lgkmcnt(0)
	v_add_f32_e32 v12, v12, v13
	ds_bpermute_b32 v13, v7, v12
	s_waitcnt lgkmcnt(0)
	v_add_f32_e32 v16, v12, v13
	ds_read_b128 v[12:15], v135 offset:16
	ds_bpermute_b32 v17, v9, v16
	s_waitcnt lgkmcnt(1)
	v_pk_mul_f16 v12, v12, v10
	v_pk_mul_f16 v13, v13, v10
	;; [unrolled: 1-line block ×4, first 2 shown]
	s_waitcnt lgkmcnt(0)
	v_add_f32_e32 v16, v16, v17
	ds_write_b128 v135, v[12:15] offset:16
	ds_write2_b64 v11, v[12:13], v[14:15] offset1:32
	ds_bpermute_b32 v17, v8, v16
	s_waitcnt lgkmcnt(0)
	v_add_f32_e32 v10, v16, v17
	s_and_saveexec_b32 s2, s0
; %bb.59:
	ds_write_b32 v1, v10 offset:128
; %bb.60:
	s_or_b32 exec_lo, exec_lo, s2
	s_waitcnt lgkmcnt(0)
	s_barrier
	buffer_gl0_inv
	ds_read_b32 v1, v4 offset:128
	ds_read_u16 v4, v134
	ds_read_u16 v10, v134 offset:1280
	ds_read_u16 v11, v134 offset:768
	;; [unrolled: 1-line block ×3, first 2 shown]
	s_add_i32 s4, s4, s37
	s_mul_i32 s2, s3, s4
	s_add_i32 s2, s2, s34
	s_waitcnt lgkmcnt(4)
	ds_bpermute_b32 v5, v5, v1
	s_waitcnt lgkmcnt(4)
	v_cvt_f32_f16_e32 v4, v4
	s_waitcnt lgkmcnt(2)
	v_cvt_f32_f16_e32 v11, v11
	;; [unrolled: 2-line block ×3, first 2 shown]
	v_add_f32_e32 v4, 0, v4
	v_add_f32_e32 v12, 0, v12
	s_waitcnt lgkmcnt(0)
	v_add_f32_e32 v1, v1, v5
	ds_bpermute_b32 v5, v6, v1
	s_waitcnt lgkmcnt(0)
	v_add_f32_e32 v1, v1, v5
	ds_bpermute_b32 v5, v7, v1
	;; [unrolled: 3-line block ×3, first 2 shown]
	ds_read_u16 v6, v134 offset:512
	ds_read_u16 v7, v134 offset:1024
	;; [unrolled: 1-line block ×3, first 2 shown]
	s_waitcnt lgkmcnt(2)
	v_cvt_f32_f16_e32 v6, v6
	v_add_f32_e32 v1, v1, v5
	ds_read_u16 v5, v134 offset:1792
	s_waitcnt lgkmcnt(2)
	v_cvt_f32_f16_e32 v7, v7
	s_waitcnt lgkmcnt(1)
	v_cvt_f32_f16_e32 v9, v9
	v_add_f32_e32 v4, v4, v6
	ds_bpermute_b32 v8, v8, v1
	v_cvt_f32_f16_e32 v6, v10
	v_add_f32_e32 v10, v12, v11
	v_add_f32_e32 v4, v4, v7
	v_add_f32_e32 v6, v10, v6
	v_add_f32_e32 v7, v4, v9
	s_waitcnt lgkmcnt(1)
	v_cvt_f32_f16_e32 v5, v5
	s_waitcnt lgkmcnt(0)
	v_add_f32_e32 v55, v1, v8
	v_add_f32_e32 v1, v6, v5
	v_div_scale_f32 v4, null, v55, v55, v7
	v_div_scale_f32 v6, null, v55, v55, v1
	v_div_scale_f32 v11, vcc_lo, v7, v55, v7
	v_rcp_f32_e32 v8, v4
	v_rcp_f32_e32 v9, v6
	v_div_scale_f32 v12, s0, v1, v55, v1
	v_fma_f32 v5, -v4, v8, 1.0
	v_fma_f32 v10, -v6, v9, 1.0
	v_fmac_f32_e32 v8, v5, v8
	v_fmac_f32_e32 v9, v10, v9
	v_mul_f32_e32 v10, v11, v8
	v_mul_f32_e32 v13, v12, v9
	v_fma_f32 v5, -v4, v10, v11
	v_fma_f32 v14, -v6, v13, v12
	v_fmac_f32_e32 v10, v5, v8
	v_fmac_f32_e32 v13, v14, v9
	v_mov_b32_e32 v5, 0
	v_fma_f32 v4, -v4, v10, v11
	v_fma_f32 v6, -v6, v13, v12
	v_div_fmas_f32 v8, v4, v8, v10
	v_lshl_or_b32 v4, s2, 8, v132
	s_mov_b32 vcc_lo, s0
	v_div_fmas_f32 v6, v6, v9, v13
	v_div_fixup_f32 v8, v8, v55, v7
	v_lshlrev_b64 v[4:5], 2, v[4:5]
	v_div_fixup_f32 v6, v6, v55, v1
	v_cndmask_b32_e64 v7, v7, v8, s1
	v_add_co_u32 v4, vcc_lo, s24, v4
	v_add_co_ci_u32_e64 v5, null, s25, v5, vcc_lo
	v_cndmask_b32_e64 v1, v1, v6, s1
	global_store_dword v[4:5], v7, off
	global_store_dword v[4:5], v1, off offset:512
.LBB31_61:
	v_mov_b32_e32 v125, v3
	v_mov_b32_e32 v124, v2
.LBB31_62:
	v_or_b32_e32 v0, s35, v0
	v_cmp_gt_u32_e32 vcc_lo, 2, v132
	s_waitcnt lgkmcnt(0)
	s_cmp_lg_u32 s3, 1
	s_cselect_b32 s1, -1, 0
	v_cmp_gt_i32_e64 s0, s36, v0
	s_and_b32 s1, s1, vcc_lo
	s_and_b32 s0, s1, s0
	s_and_saveexec_b32 s1, s0
	s_cbranch_execz .LBB31_64
; %bb.63:
	v_mad_u64_u32 v[0:1], null, s33, s36, v[0:1]
	v_cmp_eq_u32_e32 vcc_lo, 1, v132
	v_cndmask_b32_e32 v2, v124, v125, vcc_lo
	v_mad_u64_u32 v[0:1], null, v0, s37, s[38:39]
	v_cndmask_b32_e32 v3, v54, v55, vcc_lo
	v_mad_u64_u32 v[0:1], null, s3, v0, s[34:35]
	v_mov_b32_e32 v1, 0
	v_lshlrev_b64 v[0:1], 3, v[0:1]
	v_add_co_u32 v0, vcc_lo, s26, v0
	v_add_co_ci_u32_e64 v1, null, s27, v1, vcc_lo
	global_store_dwordx2 v[0:1], v[2:3], off
.LBB31_64:
	s_endpgm
	.section	.rodata,"a",@progbits
	.p2align	6, 0x0
	.amdhsa_kernel _ZL18flash_attn_ext_vecILi256ELi2EL9ggml_type2ELS0_8ELb1EEvPKcS2_S2_S2_S2_PKiPfP15HIP_vector_typeIfLj2EEffffjfiS6_IjLj3EEiiiiiiiiiiiliiliiiiil
		.amdhsa_group_segment_fixed_size 6656
		.amdhsa_private_segment_fixed_size 0
		.amdhsa_kernarg_size 464
		.amdhsa_user_sgpr_count 8
		.amdhsa_user_sgpr_private_segment_buffer 1
		.amdhsa_user_sgpr_dispatch_ptr 1
		.amdhsa_user_sgpr_queue_ptr 0
		.amdhsa_user_sgpr_kernarg_segment_ptr 1
		.amdhsa_user_sgpr_dispatch_id 0
		.amdhsa_user_sgpr_flat_scratch_init 0
		.amdhsa_user_sgpr_private_segment_size 0
		.amdhsa_wavefront_size32 1
		.amdhsa_uses_dynamic_stack 0
		.amdhsa_system_sgpr_private_segment_wavefront_offset 0
		.amdhsa_system_sgpr_workgroup_id_x 1
		.amdhsa_system_sgpr_workgroup_id_y 1
		.amdhsa_system_sgpr_workgroup_id_z 1
		.amdhsa_system_sgpr_workgroup_info 0
		.amdhsa_system_vgpr_workitem_id 2
		.amdhsa_next_free_vgpr 242
		.amdhsa_next_free_sgpr 56
		.amdhsa_reserve_vcc 1
		.amdhsa_reserve_flat_scratch 0
		.amdhsa_float_round_mode_32 0
		.amdhsa_float_round_mode_16_64 0
		.amdhsa_float_denorm_mode_32 3
		.amdhsa_float_denorm_mode_16_64 3
		.amdhsa_dx10_clamp 1
		.amdhsa_ieee_mode 1
		.amdhsa_fp16_overflow 0
		.amdhsa_workgroup_processor_mode 1
		.amdhsa_memory_ordered 1
		.amdhsa_forward_progress 1
		.amdhsa_shared_vgpr_count 0
		.amdhsa_exception_fp_ieee_invalid_op 0
		.amdhsa_exception_fp_denorm_src 0
		.amdhsa_exception_fp_ieee_div_zero 0
		.amdhsa_exception_fp_ieee_overflow 0
		.amdhsa_exception_fp_ieee_underflow 0
		.amdhsa_exception_fp_ieee_inexact 0
		.amdhsa_exception_int_div_zero 0
	.end_amdhsa_kernel
	.section	.text._ZL18flash_attn_ext_vecILi256ELi2EL9ggml_type2ELS0_8ELb1EEvPKcS2_S2_S2_S2_PKiPfP15HIP_vector_typeIfLj2EEffffjfiS6_IjLj3EEiiiiiiiiiiiliiliiiiil,"axG",@progbits,_ZL18flash_attn_ext_vecILi256ELi2EL9ggml_type2ELS0_8ELb1EEvPKcS2_S2_S2_S2_PKiPfP15HIP_vector_typeIfLj2EEffffjfiS6_IjLj3EEiiiiiiiiiiiliiliiiiil,comdat
.Lfunc_end31:
	.size	_ZL18flash_attn_ext_vecILi256ELi2EL9ggml_type2ELS0_8ELb1EEvPKcS2_S2_S2_S2_PKiPfP15HIP_vector_typeIfLj2EEffffjfiS6_IjLj3EEiiiiiiiiiiiliiliiiiil, .Lfunc_end31-_ZL18flash_attn_ext_vecILi256ELi2EL9ggml_type2ELS0_8ELb1EEvPKcS2_S2_S2_S2_PKiPfP15HIP_vector_typeIfLj2EEffffjfiS6_IjLj3EEiiiiiiiiiiiliiliiiiil
                                        ; -- End function
	.set _ZL18flash_attn_ext_vecILi256ELi2EL9ggml_type2ELS0_8ELb1EEvPKcS2_S2_S2_S2_PKiPfP15HIP_vector_typeIfLj2EEffffjfiS6_IjLj3EEiiiiiiiiiiiliiliiiiil.num_vgpr, 242
	.set _ZL18flash_attn_ext_vecILi256ELi2EL9ggml_type2ELS0_8ELb1EEvPKcS2_S2_S2_S2_PKiPfP15HIP_vector_typeIfLj2EEffffjfiS6_IjLj3EEiiiiiiiiiiiliiliiiiil.num_agpr, 0
	.set _ZL18flash_attn_ext_vecILi256ELi2EL9ggml_type2ELS0_8ELb1EEvPKcS2_S2_S2_S2_PKiPfP15HIP_vector_typeIfLj2EEffffjfiS6_IjLj3EEiiiiiiiiiiiliiliiiiil.numbered_sgpr, 56
	.set _ZL18flash_attn_ext_vecILi256ELi2EL9ggml_type2ELS0_8ELb1EEvPKcS2_S2_S2_S2_PKiPfP15HIP_vector_typeIfLj2EEffffjfiS6_IjLj3EEiiiiiiiiiiiliiliiiiil.num_named_barrier, 0
	.set _ZL18flash_attn_ext_vecILi256ELi2EL9ggml_type2ELS0_8ELb1EEvPKcS2_S2_S2_S2_PKiPfP15HIP_vector_typeIfLj2EEffffjfiS6_IjLj3EEiiiiiiiiiiiliiliiiiil.private_seg_size, 0
	.set _ZL18flash_attn_ext_vecILi256ELi2EL9ggml_type2ELS0_8ELb1EEvPKcS2_S2_S2_S2_PKiPfP15HIP_vector_typeIfLj2EEffffjfiS6_IjLj3EEiiiiiiiiiiiliiliiiiil.uses_vcc, 1
	.set _ZL18flash_attn_ext_vecILi256ELi2EL9ggml_type2ELS0_8ELb1EEvPKcS2_S2_S2_S2_PKiPfP15HIP_vector_typeIfLj2EEffffjfiS6_IjLj3EEiiiiiiiiiiiliiliiiiil.uses_flat_scratch, 0
	.set _ZL18flash_attn_ext_vecILi256ELi2EL9ggml_type2ELS0_8ELb1EEvPKcS2_S2_S2_S2_PKiPfP15HIP_vector_typeIfLj2EEffffjfiS6_IjLj3EEiiiiiiiiiiiliiliiiiil.has_dyn_sized_stack, 0
	.set _ZL18flash_attn_ext_vecILi256ELi2EL9ggml_type2ELS0_8ELb1EEvPKcS2_S2_S2_S2_PKiPfP15HIP_vector_typeIfLj2EEffffjfiS6_IjLj3EEiiiiiiiiiiiliiliiiiil.has_recursion, 0
	.set _ZL18flash_attn_ext_vecILi256ELi2EL9ggml_type2ELS0_8ELb1EEvPKcS2_S2_S2_S2_PKiPfP15HIP_vector_typeIfLj2EEffffjfiS6_IjLj3EEiiiiiiiiiiiliiliiiiil.has_indirect_call, 0
	.section	.AMDGPU.csdata,"",@progbits
; Kernel info:
; codeLenInByte = 27232
; TotalNumSgprs: 58
; NumVgprs: 242
; ScratchSize: 0
; MemoryBound: 0
; FloatMode: 240
; IeeeMode: 1
; LDSByteSize: 6656 bytes/workgroup (compile time only)
; SGPRBlocks: 0
; VGPRBlocks: 30
; NumSGPRsForWavesPerEU: 58
; NumVGPRsForWavesPerEU: 242
; Occupancy: 4
; WaveLimiterHint : 0
; COMPUTE_PGM_RSRC2:SCRATCH_EN: 0
; COMPUTE_PGM_RSRC2:USER_SGPR: 8
; COMPUTE_PGM_RSRC2:TRAP_HANDLER: 0
; COMPUTE_PGM_RSRC2:TGID_X_EN: 1
; COMPUTE_PGM_RSRC2:TGID_Y_EN: 1
; COMPUTE_PGM_RSRC2:TGID_Z_EN: 1
; COMPUTE_PGM_RSRC2:TIDIG_COMP_CNT: 2
	.text
	.p2alignl 6, 3214868480
	.fill 48, 4, 3214868480
	.section	.AMDGPU.gpr_maximums,"",@progbits
	.set amdgpu.max_num_vgpr, 40
	.set amdgpu.max_num_agpr, 0
	.set amdgpu.max_num_sgpr, 34
	.text
	.type	.str.3,@object                  ; @.str.3
	.section	.rodata.str1.1,"aMS",@progbits,1
.str.3:
	.asciz	"/root/src/amdgpu-assembly/repos/ggml-org__llama.cpp/ggml/src/ggml-cuda/template-instances/../fattn-vec.cuh"
	.size	.str.3, 107

	.type	__FUNCTION__._ZL18flash_attn_ext_vecILi64ELi1EL9ggml_type2ELS0_8ELb1EEvPKcS2_S2_S2_S2_PKiPfP15HIP_vector_typeIfLj2EEffffjfiS6_IjLj3EEiiiiiiiiiiiliiliiiiil,@object ; @__FUNCTION__._ZL18flash_attn_ext_vecILi64ELi1EL9ggml_type2ELS0_8ELb1EEvPKcS2_S2_S2_S2_PKiPfP15HIP_vector_typeIfLj2EEffffjfiS6_IjLj3EEiiiiiiiiiiiliiliiiiil
__FUNCTION__._ZL18flash_attn_ext_vecILi64ELi1EL9ggml_type2ELS0_8ELb1EEvPKcS2_S2_S2_S2_PKiPfP15HIP_vector_typeIfLj2EEffffjfiS6_IjLj3EEiiiiiiiiiiiliiliiiiil:
	.asciz	"flash_attn_ext_vec"
	.size	__FUNCTION__._ZL18flash_attn_ext_vecILi64ELi1EL9ggml_type2ELS0_8ELb1EEvPKcS2_S2_S2_S2_PKiPfP15HIP_vector_typeIfLj2EEffffjfiS6_IjLj3EEiiiiiiiiiiiliiliiiiil, 19

	.type	.str.5,@object                  ; @.str.5
.str.5:
	.asciz	"%s:%d: ERROR: HIP kernel %s has no device code compatible with HIP arch %d.\n"
	.size	.str.5, 77

	.type	__hip_cuid_b7de79a0f19a5286,@object ; @__hip_cuid_b7de79a0f19a5286
	.section	.bss,"aw",@nobits
	.globl	__hip_cuid_b7de79a0f19a5286
__hip_cuid_b7de79a0f19a5286:
	.byte	0                               ; 0x0
	.size	__hip_cuid_b7de79a0f19a5286, 1

	.ident	"AMD clang version 22.0.0git (https://github.com/RadeonOpenCompute/llvm-project roc-7.2.4 26084 f58b06dce1f9c15707c5f808fd002e18c2accf7e)"
	.section	".note.GNU-stack","",@progbits
	.addrsig
	.addrsig_sym __hip_cuid_b7de79a0f19a5286
	.amdgpu_metadata
---
amdhsa.kernels:
  - .args:
      - .address_space:  global
        .offset:         0
        .size:           8
        .value_kind:     global_buffer
      - .address_space:  global
        .offset:         8
        .size:           8
        .value_kind:     global_buffer
      - .address_space:  global
        .offset:         16
        .size:           8
        .value_kind:     global_buffer
      - .address_space:  global
        .offset:         24
        .size:           8
        .value_kind:     global_buffer
      - .address_space:  global
        .offset:         32
        .size:           8
        .value_kind:     global_buffer
      - .address_space:  global
        .offset:         40
        .size:           8
        .value_kind:     global_buffer
      - .address_space:  global
        .offset:         48
        .size:           8
        .value_kind:     global_buffer
      - .address_space:  global
        .offset:         56
        .size:           8
        .value_kind:     global_buffer
      - .offset:         64
        .size:           4
        .value_kind:     by_value
      - .offset:         68
        .size:           4
        .value_kind:     by_value
      - .offset:         72
        .size:           4
        .value_kind:     by_value
      - .offset:         76
        .size:           4
        .value_kind:     by_value
      - .offset:         80
        .size:           4
        .value_kind:     by_value
      - .offset:         84
        .size:           4
        .value_kind:     by_value
      - .offset:         88
        .size:           4
        .value_kind:     by_value
      - .offset:         92
        .size:           12
        .value_kind:     by_value
      - .offset:         104
        .size:           4
        .value_kind:     by_value
      - .offset:         108
        .size:           4
        .value_kind:     by_value
      - .offset:         112
        .size:           4
        .value_kind:     by_value
      - .offset:         116
        .size:           4
        .value_kind:     by_value
      - .offset:         120
        .size:           4
        .value_kind:     by_value
      - .offset:         124
        .size:           4
        .value_kind:     by_value
      - .offset:         128
        .size:           4
        .value_kind:     by_value
      - .offset:         132
        .size:           4
        .value_kind:     by_value
      - .offset:         136
        .size:           4
        .value_kind:     by_value
      - .offset:         140
        .size:           4
        .value_kind:     by_value
      - .offset:         144
        .size:           4
        .value_kind:     by_value
      - .offset:         152
        .size:           8
        .value_kind:     by_value
      - .offset:         160
        .size:           4
        .value_kind:     by_value
      - .offset:         164
        .size:           4
        .value_kind:     by_value
      - .offset:         168
        .size:           8
        .value_kind:     by_value
      - .offset:         176
        .size:           4
        .value_kind:     by_value
      - .offset:         180
        .size:           4
        .value_kind:     by_value
      - .offset:         184
        .size:           4
        .value_kind:     by_value
      - .offset:         188
        .size:           4
        .value_kind:     by_value
      - .offset:         192
        .size:           4
        .value_kind:     by_value
      - .offset:         200
        .size:           8
        .value_kind:     by_value
      - .offset:         208
        .size:           4
        .value_kind:     hidden_block_count_x
      - .offset:         212
        .size:           4
        .value_kind:     hidden_block_count_y
      - .offset:         216
        .size:           4
        .value_kind:     hidden_block_count_z
      - .offset:         220
        .size:           2
        .value_kind:     hidden_group_size_x
      - .offset:         222
        .size:           2
        .value_kind:     hidden_group_size_y
      - .offset:         224
        .size:           2
        .value_kind:     hidden_group_size_z
      - .offset:         226
        .size:           2
        .value_kind:     hidden_remainder_x
      - .offset:         228
        .size:           2
        .value_kind:     hidden_remainder_y
      - .offset:         230
        .size:           2
        .value_kind:     hidden_remainder_z
      - .offset:         248
        .size:           8
        .value_kind:     hidden_global_offset_x
      - .offset:         256
        .size:           8
        .value_kind:     hidden_global_offset_y
      - .offset:         264
        .size:           8
        .value_kind:     hidden_global_offset_z
      - .offset:         272
        .size:           2
        .value_kind:     hidden_grid_dims
    .group_segment_fixed_size: 1280
    .kernarg_segment_align: 8
    .kernarg_segment_size: 464
    .language:       OpenCL C
    .language_version:
      - 2
      - 0
    .max_flat_workgroup_size: 128
    .name:           _ZL18flash_attn_ext_vecILi64ELi1EL9ggml_type2ELS0_8ELb0EEvPKcS2_S2_S2_S2_PKiPfP15HIP_vector_typeIfLj2EEffffjfiS6_IjLj3EEiiiiiiiiiiiliiliiiiil
    .private_segment_fixed_size: 0
    .sgpr_count:     52
    .sgpr_spill_count: 0
    .symbol:         _ZL18flash_attn_ext_vecILi64ELi1EL9ggml_type2ELS0_8ELb0EEvPKcS2_S2_S2_S2_PKiPfP15HIP_vector_typeIfLj2EEffffjfiS6_IjLj3EEiiiiiiiiiiiliiliiiiil.kd
    .uniform_work_group_size: 1
    .uses_dynamic_stack: false
    .vgpr_count:     124
    .vgpr_spill_count: 0
    .wavefront_size: 32
    .workgroup_processor_mode: 1
  - .args:
      - .actual_access:  read_only
        .address_space:  global
        .offset:         0
        .size:           8
        .value_kind:     global_buffer
      - .actual_access:  write_only
        .address_space:  global
        .offset:         8
        .size:           8
        .value_kind:     global_buffer
      - .offset:         16
        .size:           4
        .value_kind:     by_value
      - .offset:         20
        .size:           4
        .value_kind:     by_value
      - .offset:         24
        .size:           4
        .value_kind:     by_value
      - .offset:         32
        .size:           4
        .value_kind:     hidden_block_count_x
      - .offset:         36
        .size:           4
        .value_kind:     hidden_block_count_y
      - .offset:         40
        .size:           4
        .value_kind:     hidden_block_count_z
      - .offset:         44
        .size:           2
        .value_kind:     hidden_group_size_x
      - .offset:         46
        .size:           2
        .value_kind:     hidden_group_size_y
      - .offset:         48
        .size:           2
        .value_kind:     hidden_group_size_z
      - .offset:         50
        .size:           2
        .value_kind:     hidden_remainder_x
      - .offset:         52
        .size:           2
        .value_kind:     hidden_remainder_y
      - .offset:         54
        .size:           2
        .value_kind:     hidden_remainder_z
      - .offset:         72
        .size:           8
        .value_kind:     hidden_global_offset_x
      - .offset:         80
        .size:           8
        .value_kind:     hidden_global_offset_y
      - .offset:         88
        .size:           8
        .value_kind:     hidden_global_offset_z
      - .offset:         96
        .size:           2
        .value_kind:     hidden_grid_dims
    .group_segment_fixed_size: 128
    .kernarg_segment_align: 8
    .kernarg_segment_size: 288
    .language:       OpenCL C
    .language_version:
      - 2
      - 0
    .max_flat_workgroup_size: 128
    .name:           _ZL25flash_attn_mask_to_KV_maxILi1EEvPK7__half2Piiii
    .private_segment_fixed_size: 0
    .sgpr_count:     18
    .sgpr_spill_count: 0
    .symbol:         _ZL25flash_attn_mask_to_KV_maxILi1EEvPK7__half2Piiii.kd
    .uniform_work_group_size: 1
    .uses_dynamic_stack: false
    .vgpr_count:     8
    .vgpr_spill_count: 0
    .wavefront_size: 32
    .workgroup_processor_mode: 1
  - .args:
      - .address_space:  global
        .offset:         0
        .size:           8
        .value_kind:     global_buffer
      - .address_space:  global
        .offset:         8
        .size:           8
        .value_kind:     global_buffer
      - .offset:         16
        .size:           4
        .value_kind:     by_value
      - .offset:         20
        .size:           4
        .value_kind:     by_value
      - .offset:         24
        .size:           4
        .value_kind:     by_value
      - .offset:         28
        .size:           4
        .value_kind:     by_value
      - .offset:         32
        .size:           4
        .value_kind:     by_value
      - .offset:         36
        .size:           4
        .value_kind:     by_value
      - .offset:         40
        .size:           12
        .value_kind:     by_value
      - .offset:         52
        .size:           12
        .value_kind:     by_value
      - .offset:         64
        .size:           12
        .value_kind:     by_value
    .group_segment_fixed_size: 0
    .kernarg_segment_align: 8
    .kernarg_segment_size: 76
    .language:       OpenCL C
    .language_version:
      - 2
      - 0
    .max_flat_workgroup_size: 64
    .name:           _ZL33flash_attn_stream_k_fixup_uniformILi64ELi1ELi1EEvPfPK15HIP_vector_typeIfLj2EEiiiiiiS1_IjLj3EES5_S5_
    .private_segment_fixed_size: 0
    .sgpr_count:     22
    .sgpr_spill_count: 0
    .symbol:         _ZL33flash_attn_stream_k_fixup_uniformILi64ELi1ELi1EEvPfPK15HIP_vector_typeIfLj2EEiiiiiiS1_IjLj3EES5_S5_.kd
    .uniform_work_group_size: 1
    .uses_dynamic_stack: false
    .vgpr_count:     15
    .vgpr_spill_count: 0
    .wavefront_size: 32
    .workgroup_processor_mode: 1
  - .args:
      - .address_space:  global
        .offset:         0
        .size:           8
        .value_kind:     global_buffer
      - .address_space:  global
        .offset:         8
        .size:           8
        .value_kind:     global_buffer
      - .offset:         16
        .size:           4
        .value_kind:     by_value
      - .offset:         20
        .size:           4
        .value_kind:     by_value
      - .offset:         24
        .size:           4
        .value_kind:     by_value
      - .offset:         28
        .size:           4
        .value_kind:     by_value
      - .offset:         32
        .size:           12
        .value_kind:     by_value
      - .offset:         44
        .size:           12
        .value_kind:     by_value
      - .offset:         56
        .size:           12
        .value_kind:     by_value
      - .offset:         68
        .size:           12
        .value_kind:     by_value
      - .offset:         80
        .size:           4
        .value_kind:     hidden_block_count_x
      - .offset:         84
        .size:           4
        .value_kind:     hidden_block_count_y
      - .offset:         88
        .size:           4
        .value_kind:     hidden_block_count_z
      - .offset:         92
        .size:           2
        .value_kind:     hidden_group_size_x
      - .offset:         94
        .size:           2
        .value_kind:     hidden_group_size_y
      - .offset:         96
        .size:           2
        .value_kind:     hidden_group_size_z
      - .offset:         98
        .size:           2
        .value_kind:     hidden_remainder_x
      - .offset:         100
        .size:           2
        .value_kind:     hidden_remainder_y
      - .offset:         102
        .size:           2
        .value_kind:     hidden_remainder_z
      - .offset:         120
        .size:           8
        .value_kind:     hidden_global_offset_x
      - .offset:         128
        .size:           8
        .value_kind:     hidden_global_offset_y
      - .offset:         136
        .size:           8
        .value_kind:     hidden_global_offset_z
      - .offset:         144
        .size:           2
        .value_kind:     hidden_grid_dims
    .group_segment_fixed_size: 0
    .kernarg_segment_align: 8
    .kernarg_segment_size: 336
    .language:       OpenCL C
    .language_version:
      - 2
      - 0
    .max_flat_workgroup_size: 64
    .name:           _ZL33flash_attn_stream_k_fixup_generalILi64ELi1ELi1EEvPfPK15HIP_vector_typeIfLj2EEiiiiS1_IjLj3EES5_S5_S5_
    .private_segment_fixed_size: 0
    .sgpr_count:     33
    .sgpr_spill_count: 0
    .symbol:         _ZL33flash_attn_stream_k_fixup_generalILi64ELi1ELi1EEvPfPK15HIP_vector_typeIfLj2EEiiiiS1_IjLj3EES5_S5_S5_.kd
    .uniform_work_group_size: 1
    .uses_dynamic_stack: false
    .vgpr_count:     17
    .vgpr_spill_count: 0
    .wavefront_size: 32
    .workgroup_processor_mode: 1
  - .args:
      - .address_space:  global
        .offset:         0
        .size:           8
        .value_kind:     global_buffer
      - .address_space:  global
        .offset:         8
        .size:           8
        .value_kind:     global_buffer
      - .address_space:  global
        .offset:         16
        .size:           8
        .value_kind:     global_buffer
      - .offset:         24
        .size:           4
        .value_kind:     by_value
      - .offset:         32
        .size:           4
        .value_kind:     hidden_block_count_x
      - .offset:         36
        .size:           4
        .value_kind:     hidden_block_count_y
      - .offset:         40
        .size:           4
        .value_kind:     hidden_block_count_z
      - .offset:         44
        .size:           2
        .value_kind:     hidden_group_size_x
      - .offset:         46
        .size:           2
        .value_kind:     hidden_group_size_y
      - .offset:         48
        .size:           2
        .value_kind:     hidden_group_size_z
      - .offset:         50
        .size:           2
        .value_kind:     hidden_remainder_x
      - .offset:         52
        .size:           2
        .value_kind:     hidden_remainder_y
      - .offset:         54
        .size:           2
        .value_kind:     hidden_remainder_z
      - .offset:         72
        .size:           8
        .value_kind:     hidden_global_offset_x
      - .offset:         80
        .size:           8
        .value_kind:     hidden_global_offset_y
      - .offset:         88
        .size:           8
        .value_kind:     hidden_global_offset_z
      - .offset:         96
        .size:           2
        .value_kind:     hidden_grid_dims
      - .offset:         152
        .size:           4
        .value_kind:     hidden_dynamic_lds_size
    .group_segment_fixed_size: 0
    .kernarg_segment_align: 8
    .kernarg_segment_size: 288
    .language:       OpenCL C
    .language_version:
      - 2
      - 0
    .max_flat_workgroup_size: 64
    .name:           _ZL26flash_attn_combine_resultsILi64EEvPKfPK15HIP_vector_typeIfLj2EEPfi
    .private_segment_fixed_size: 0
    .sgpr_count:     20
    .sgpr_spill_count: 0
    .symbol:         _ZL26flash_attn_combine_resultsILi64EEvPKfPK15HIP_vector_typeIfLj2EEPfi.kd
    .uniform_work_group_size: 1
    .uses_dynamic_stack: false
    .vgpr_count:     52
    .vgpr_spill_count: 0
    .wavefront_size: 32
    .workgroup_processor_mode: 1
  - .args:
      - .address_space:  global
        .offset:         0
        .size:           8
        .value_kind:     global_buffer
      - .address_space:  global
        .offset:         8
        .size:           8
        .value_kind:     global_buffer
      - .address_space:  global
        .offset:         16
        .size:           8
        .value_kind:     global_buffer
      - .address_space:  global
        .offset:         24
        .size:           8
        .value_kind:     global_buffer
      - .address_space:  global
        .offset:         32
        .size:           8
        .value_kind:     global_buffer
      - .address_space:  global
        .offset:         40
        .size:           8
        .value_kind:     global_buffer
      - .address_space:  global
        .offset:         48
        .size:           8
        .value_kind:     global_buffer
      - .address_space:  global
        .offset:         56
        .size:           8
        .value_kind:     global_buffer
      - .offset:         64
        .size:           4
        .value_kind:     by_value
      - .offset:         68
        .size:           4
        .value_kind:     by_value
      - .offset:         72
        .size:           4
        .value_kind:     by_value
      - .offset:         76
        .size:           4
        .value_kind:     by_value
      - .offset:         80
        .size:           4
        .value_kind:     by_value
      - .offset:         84
        .size:           4
        .value_kind:     by_value
      - .offset:         88
        .size:           4
        .value_kind:     by_value
      - .offset:         92
        .size:           12
        .value_kind:     by_value
      - .offset:         104
        .size:           4
        .value_kind:     by_value
      - .offset:         108
        .size:           4
        .value_kind:     by_value
      - .offset:         112
        .size:           4
        .value_kind:     by_value
      - .offset:         116
        .size:           4
        .value_kind:     by_value
      - .offset:         120
        .size:           4
        .value_kind:     by_value
      - .offset:         124
        .size:           4
        .value_kind:     by_value
      - .offset:         128
        .size:           4
        .value_kind:     by_value
      - .offset:         132
        .size:           4
        .value_kind:     by_value
      - .offset:         136
        .size:           4
        .value_kind:     by_value
      - .offset:         140
        .size:           4
        .value_kind:     by_value
      - .offset:         144
        .size:           4
        .value_kind:     by_value
      - .offset:         152
        .size:           8
        .value_kind:     by_value
      - .offset:         160
        .size:           4
        .value_kind:     by_value
      - .offset:         164
        .size:           4
        .value_kind:     by_value
      - .offset:         168
        .size:           8
        .value_kind:     by_value
      - .offset:         176
        .size:           4
        .value_kind:     by_value
      - .offset:         180
        .size:           4
        .value_kind:     by_value
      - .offset:         184
        .size:           4
        .value_kind:     by_value
      - .offset:         188
        .size:           4
        .value_kind:     by_value
      - .offset:         192
        .size:           4
        .value_kind:     by_value
      - .offset:         200
        .size:           8
        .value_kind:     by_value
      - .offset:         208
        .size:           4
        .value_kind:     hidden_block_count_x
      - .offset:         212
        .size:           4
        .value_kind:     hidden_block_count_y
      - .offset:         216
        .size:           4
        .value_kind:     hidden_block_count_z
      - .offset:         220
        .size:           2
        .value_kind:     hidden_group_size_x
      - .offset:         222
        .size:           2
        .value_kind:     hidden_group_size_y
      - .offset:         224
        .size:           2
        .value_kind:     hidden_group_size_z
      - .offset:         226
        .size:           2
        .value_kind:     hidden_remainder_x
      - .offset:         228
        .size:           2
        .value_kind:     hidden_remainder_y
      - .offset:         230
        .size:           2
        .value_kind:     hidden_remainder_z
      - .offset:         248
        .size:           8
        .value_kind:     hidden_global_offset_x
      - .offset:         256
        .size:           8
        .value_kind:     hidden_global_offset_y
      - .offset:         264
        .size:           8
        .value_kind:     hidden_global_offset_z
      - .offset:         272
        .size:           2
        .value_kind:     hidden_grid_dims
      - .offset:         288
        .size:           8
        .value_kind:     hidden_hostcall_buffer
    .group_segment_fixed_size: 0
    .kernarg_segment_align: 8
    .kernarg_segment_size: 464
    .language:       OpenCL C
    .language_version:
      - 2
      - 0
    .max_flat_workgroup_size: 128
    .name:           _ZL18flash_attn_ext_vecILi64ELi1EL9ggml_type2ELS0_8ELb1EEvPKcS2_S2_S2_S2_PKiPfP15HIP_vector_typeIfLj2EEffffjfiS6_IjLj3EEiiiiiiiiiiiliiliiiiil
    .private_segment_fixed_size: 16
    .sgpr_count:     36
    .sgpr_spill_count: 0
    .symbol:         _ZL18flash_attn_ext_vecILi64ELi1EL9ggml_type2ELS0_8ELb1EEvPKcS2_S2_S2_S2_PKiPfP15HIP_vector_typeIfLj2EEffffjfiS6_IjLj3EEiiiiiiiiiiiliiliiiiil.kd
    .uniform_work_group_size: 1
    .uses_dynamic_stack: false
    .vgpr_count:     40
    .vgpr_spill_count: 0
    .wavefront_size: 32
    .workgroup_processor_mode: 1
  - .args:
      - .address_space:  global
        .offset:         0
        .size:           8
        .value_kind:     global_buffer
      - .address_space:  global
        .offset:         8
        .size:           8
        .value_kind:     global_buffer
      - .address_space:  global
        .offset:         16
        .size:           8
        .value_kind:     global_buffer
      - .address_space:  global
        .offset:         24
        .size:           8
        .value_kind:     global_buffer
      - .address_space:  global
        .offset:         32
        .size:           8
        .value_kind:     global_buffer
      - .address_space:  global
        .offset:         40
        .size:           8
        .value_kind:     global_buffer
      - .address_space:  global
        .offset:         48
        .size:           8
        .value_kind:     global_buffer
      - .address_space:  global
        .offset:         56
        .size:           8
        .value_kind:     global_buffer
      - .offset:         64
        .size:           4
        .value_kind:     by_value
      - .offset:         68
        .size:           4
        .value_kind:     by_value
      - .offset:         72
        .size:           4
        .value_kind:     by_value
      - .offset:         76
        .size:           4
        .value_kind:     by_value
      - .offset:         80
        .size:           4
        .value_kind:     by_value
      - .offset:         84
        .size:           4
        .value_kind:     by_value
      - .offset:         88
        .size:           4
        .value_kind:     by_value
      - .offset:         92
        .size:           12
        .value_kind:     by_value
      - .offset:         104
        .size:           4
        .value_kind:     by_value
      - .offset:         108
        .size:           4
        .value_kind:     by_value
      - .offset:         112
        .size:           4
        .value_kind:     by_value
      - .offset:         116
        .size:           4
        .value_kind:     by_value
      - .offset:         120
        .size:           4
        .value_kind:     by_value
      - .offset:         124
        .size:           4
        .value_kind:     by_value
      - .offset:         128
        .size:           4
        .value_kind:     by_value
      - .offset:         132
        .size:           4
        .value_kind:     by_value
      - .offset:         136
        .size:           4
        .value_kind:     by_value
      - .offset:         140
        .size:           4
        .value_kind:     by_value
      - .offset:         144
        .size:           4
        .value_kind:     by_value
      - .offset:         152
        .size:           8
        .value_kind:     by_value
      - .offset:         160
        .size:           4
        .value_kind:     by_value
      - .offset:         164
        .size:           4
        .value_kind:     by_value
      - .offset:         168
        .size:           8
        .value_kind:     by_value
      - .offset:         176
        .size:           4
        .value_kind:     by_value
      - .offset:         180
        .size:           4
        .value_kind:     by_value
      - .offset:         184
        .size:           4
        .value_kind:     by_value
      - .offset:         188
        .size:           4
        .value_kind:     by_value
      - .offset:         192
        .size:           4
        .value_kind:     by_value
      - .offset:         200
        .size:           8
        .value_kind:     by_value
      - .offset:         208
        .size:           4
        .value_kind:     hidden_block_count_x
      - .offset:         212
        .size:           4
        .value_kind:     hidden_block_count_y
      - .offset:         216
        .size:           4
        .value_kind:     hidden_block_count_z
      - .offset:         220
        .size:           2
        .value_kind:     hidden_group_size_x
      - .offset:         222
        .size:           2
        .value_kind:     hidden_group_size_y
      - .offset:         224
        .size:           2
        .value_kind:     hidden_group_size_z
      - .offset:         226
        .size:           2
        .value_kind:     hidden_remainder_x
      - .offset:         228
        .size:           2
        .value_kind:     hidden_remainder_y
      - .offset:         230
        .size:           2
        .value_kind:     hidden_remainder_z
      - .offset:         248
        .size:           8
        .value_kind:     hidden_global_offset_x
      - .offset:         256
        .size:           8
        .value_kind:     hidden_global_offset_y
      - .offset:         264
        .size:           8
        .value_kind:     hidden_global_offset_z
      - .offset:         272
        .size:           2
        .value_kind:     hidden_grid_dims
    .group_segment_fixed_size: 3584
    .kernarg_segment_align: 8
    .kernarg_segment_size: 464
    .language:       OpenCL C
    .language_version:
      - 2
      - 0
    .max_flat_workgroup_size: 128
    .name:           _ZL18flash_attn_ext_vecILi64ELi2EL9ggml_type2ELS0_8ELb0EEvPKcS2_S2_S2_S2_PKiPfP15HIP_vector_typeIfLj2EEffffjfiS6_IjLj3EEiiiiiiiiiiiliiliiiiil
    .private_segment_fixed_size: 0
    .sgpr_count:     56
    .sgpr_spill_count: 0
    .symbol:         _ZL18flash_attn_ext_vecILi64ELi2EL9ggml_type2ELS0_8ELb0EEvPKcS2_S2_S2_S2_PKiPfP15HIP_vector_typeIfLj2EEffffjfiS6_IjLj3EEiiiiiiiiiiiliiliiiiil.kd
    .uniform_work_group_size: 1
    .uses_dynamic_stack: false
    .vgpr_count:     147
    .vgpr_spill_count: 0
    .wavefront_size: 32
    .workgroup_processor_mode: 1
  - .args:
      - .actual_access:  read_only
        .address_space:  global
        .offset:         0
        .size:           8
        .value_kind:     global_buffer
      - .actual_access:  write_only
        .address_space:  global
        .offset:         8
        .size:           8
        .value_kind:     global_buffer
      - .offset:         16
        .size:           4
        .value_kind:     by_value
      - .offset:         20
        .size:           4
        .value_kind:     by_value
      - .offset:         24
        .size:           4
        .value_kind:     by_value
      - .offset:         32
        .size:           4
        .value_kind:     hidden_block_count_x
      - .offset:         36
        .size:           4
        .value_kind:     hidden_block_count_y
      - .offset:         40
        .size:           4
        .value_kind:     hidden_block_count_z
      - .offset:         44
        .size:           2
        .value_kind:     hidden_group_size_x
      - .offset:         46
        .size:           2
        .value_kind:     hidden_group_size_y
      - .offset:         48
        .size:           2
        .value_kind:     hidden_group_size_z
      - .offset:         50
        .size:           2
        .value_kind:     hidden_remainder_x
      - .offset:         52
        .size:           2
        .value_kind:     hidden_remainder_y
      - .offset:         54
        .size:           2
        .value_kind:     hidden_remainder_z
      - .offset:         72
        .size:           8
        .value_kind:     hidden_global_offset_x
      - .offset:         80
        .size:           8
        .value_kind:     hidden_global_offset_y
      - .offset:         88
        .size:           8
        .value_kind:     hidden_global_offset_z
      - .offset:         96
        .size:           2
        .value_kind:     hidden_grid_dims
    .group_segment_fixed_size: 128
    .kernarg_segment_align: 8
    .kernarg_segment_size: 288
    .language:       OpenCL C
    .language_version:
      - 2
      - 0
    .max_flat_workgroup_size: 128
    .name:           _ZL25flash_attn_mask_to_KV_maxILi2EEvPK7__half2Piiii
    .private_segment_fixed_size: 0
    .sgpr_count:     18
    .sgpr_spill_count: 0
    .symbol:         _ZL25flash_attn_mask_to_KV_maxILi2EEvPK7__half2Piiii.kd
    .uniform_work_group_size: 1
    .uses_dynamic_stack: false
    .vgpr_count:     8
    .vgpr_spill_count: 0
    .wavefront_size: 32
    .workgroup_processor_mode: 1
  - .args:
      - .address_space:  global
        .offset:         0
        .size:           8
        .value_kind:     global_buffer
      - .address_space:  global
        .offset:         8
        .size:           8
        .value_kind:     global_buffer
      - .offset:         16
        .size:           4
        .value_kind:     by_value
      - .offset:         20
        .size:           4
        .value_kind:     by_value
      - .offset:         24
        .size:           4
        .value_kind:     by_value
      - .offset:         28
        .size:           4
        .value_kind:     by_value
      - .offset:         32
        .size:           4
        .value_kind:     by_value
      - .offset:         36
        .size:           4
        .value_kind:     by_value
      - .offset:         40
        .size:           12
        .value_kind:     by_value
      - .offset:         52
        .size:           12
        .value_kind:     by_value
      - .offset:         64
        .size:           12
        .value_kind:     by_value
    .group_segment_fixed_size: 0
    .kernarg_segment_align: 8
    .kernarg_segment_size: 76
    .language:       OpenCL C
    .language_version:
      - 2
      - 0
    .max_flat_workgroup_size: 64
    .name:           _ZL33flash_attn_stream_k_fixup_uniformILi64ELi2ELi1EEvPfPK15HIP_vector_typeIfLj2EEiiiiiiS1_IjLj3EES5_S5_
    .private_segment_fixed_size: 0
    .sgpr_count:     26
    .sgpr_spill_count: 0
    .symbol:         _ZL33flash_attn_stream_k_fixup_uniformILi64ELi2ELi1EEvPfPK15HIP_vector_typeIfLj2EEiiiiiiS1_IjLj3EES5_S5_.kd
    .uniform_work_group_size: 1
    .uses_dynamic_stack: false
    .vgpr_count:     15
    .vgpr_spill_count: 0
    .wavefront_size: 32
    .workgroup_processor_mode: 1
  - .args:
      - .address_space:  global
        .offset:         0
        .size:           8
        .value_kind:     global_buffer
      - .address_space:  global
        .offset:         8
        .size:           8
        .value_kind:     global_buffer
      - .offset:         16
        .size:           4
        .value_kind:     by_value
      - .offset:         20
        .size:           4
        .value_kind:     by_value
      - .offset:         24
        .size:           4
        .value_kind:     by_value
      - .offset:         28
        .size:           4
        .value_kind:     by_value
      - .offset:         32
        .size:           12
        .value_kind:     by_value
      - .offset:         44
        .size:           12
        .value_kind:     by_value
      - .offset:         56
        .size:           12
        .value_kind:     by_value
      - .offset:         68
        .size:           12
        .value_kind:     by_value
      - .offset:         80
        .size:           4
        .value_kind:     hidden_block_count_x
      - .offset:         84
        .size:           4
        .value_kind:     hidden_block_count_y
      - .offset:         88
        .size:           4
        .value_kind:     hidden_block_count_z
      - .offset:         92
        .size:           2
        .value_kind:     hidden_group_size_x
      - .offset:         94
        .size:           2
        .value_kind:     hidden_group_size_y
      - .offset:         96
        .size:           2
        .value_kind:     hidden_group_size_z
      - .offset:         98
        .size:           2
        .value_kind:     hidden_remainder_x
      - .offset:         100
        .size:           2
        .value_kind:     hidden_remainder_y
      - .offset:         102
        .size:           2
        .value_kind:     hidden_remainder_z
      - .offset:         120
        .size:           8
        .value_kind:     hidden_global_offset_x
      - .offset:         128
        .size:           8
        .value_kind:     hidden_global_offset_y
      - .offset:         136
        .size:           8
        .value_kind:     hidden_global_offset_z
      - .offset:         144
        .size:           2
        .value_kind:     hidden_grid_dims
    .group_segment_fixed_size: 0
    .kernarg_segment_align: 8
    .kernarg_segment_size: 336
    .language:       OpenCL C
    .language_version:
      - 2
      - 0
    .max_flat_workgroup_size: 64
    .name:           _ZL33flash_attn_stream_k_fixup_generalILi64ELi2ELi1EEvPfPK15HIP_vector_typeIfLj2EEiiiiS1_IjLj3EES5_S5_S5_
    .private_segment_fixed_size: 0
    .sgpr_count:     33
    .sgpr_spill_count: 0
    .symbol:         _ZL33flash_attn_stream_k_fixup_generalILi64ELi2ELi1EEvPfPK15HIP_vector_typeIfLj2EEiiiiS1_IjLj3EES5_S5_S5_.kd
    .uniform_work_group_size: 1
    .uses_dynamic_stack: false
    .vgpr_count:     17
    .vgpr_spill_count: 0
    .wavefront_size: 32
    .workgroup_processor_mode: 1
  - .args:
      - .address_space:  global
        .offset:         0
        .size:           8
        .value_kind:     global_buffer
      - .address_space:  global
        .offset:         8
        .size:           8
        .value_kind:     global_buffer
      - .address_space:  global
        .offset:         16
        .size:           8
        .value_kind:     global_buffer
      - .address_space:  global
        .offset:         24
        .size:           8
        .value_kind:     global_buffer
      - .address_space:  global
        .offset:         32
        .size:           8
        .value_kind:     global_buffer
      - .address_space:  global
        .offset:         40
        .size:           8
        .value_kind:     global_buffer
      - .address_space:  global
        .offset:         48
        .size:           8
        .value_kind:     global_buffer
      - .address_space:  global
        .offset:         56
        .size:           8
        .value_kind:     global_buffer
      - .offset:         64
        .size:           4
        .value_kind:     by_value
      - .offset:         68
        .size:           4
        .value_kind:     by_value
      - .offset:         72
        .size:           4
        .value_kind:     by_value
      - .offset:         76
        .size:           4
        .value_kind:     by_value
      - .offset:         80
        .size:           4
        .value_kind:     by_value
      - .offset:         84
        .size:           4
        .value_kind:     by_value
      - .offset:         88
        .size:           4
        .value_kind:     by_value
      - .offset:         92
        .size:           12
        .value_kind:     by_value
      - .offset:         104
        .size:           4
        .value_kind:     by_value
      - .offset:         108
        .size:           4
        .value_kind:     by_value
      - .offset:         112
        .size:           4
        .value_kind:     by_value
      - .offset:         116
        .size:           4
        .value_kind:     by_value
      - .offset:         120
        .size:           4
        .value_kind:     by_value
      - .offset:         124
        .size:           4
        .value_kind:     by_value
      - .offset:         128
        .size:           4
        .value_kind:     by_value
      - .offset:         132
        .size:           4
        .value_kind:     by_value
      - .offset:         136
        .size:           4
        .value_kind:     by_value
      - .offset:         140
        .size:           4
        .value_kind:     by_value
      - .offset:         144
        .size:           4
        .value_kind:     by_value
      - .offset:         152
        .size:           8
        .value_kind:     by_value
      - .offset:         160
        .size:           4
        .value_kind:     by_value
      - .offset:         164
        .size:           4
        .value_kind:     by_value
      - .offset:         168
        .size:           8
        .value_kind:     by_value
      - .offset:         176
        .size:           4
        .value_kind:     by_value
      - .offset:         180
        .size:           4
        .value_kind:     by_value
      - .offset:         184
        .size:           4
        .value_kind:     by_value
      - .offset:         188
        .size:           4
        .value_kind:     by_value
      - .offset:         192
        .size:           4
        .value_kind:     by_value
      - .offset:         200
        .size:           8
        .value_kind:     by_value
      - .offset:         208
        .size:           4
        .value_kind:     hidden_block_count_x
      - .offset:         212
        .size:           4
        .value_kind:     hidden_block_count_y
      - .offset:         216
        .size:           4
        .value_kind:     hidden_block_count_z
      - .offset:         220
        .size:           2
        .value_kind:     hidden_group_size_x
      - .offset:         222
        .size:           2
        .value_kind:     hidden_group_size_y
      - .offset:         224
        .size:           2
        .value_kind:     hidden_group_size_z
      - .offset:         226
        .size:           2
        .value_kind:     hidden_remainder_x
      - .offset:         228
        .size:           2
        .value_kind:     hidden_remainder_y
      - .offset:         230
        .size:           2
        .value_kind:     hidden_remainder_z
      - .offset:         248
        .size:           8
        .value_kind:     hidden_global_offset_x
      - .offset:         256
        .size:           8
        .value_kind:     hidden_global_offset_y
      - .offset:         264
        .size:           8
        .value_kind:     hidden_global_offset_z
      - .offset:         272
        .size:           2
        .value_kind:     hidden_grid_dims
      - .offset:         288
        .size:           8
        .value_kind:     hidden_hostcall_buffer
    .group_segment_fixed_size: 0
    .kernarg_segment_align: 8
    .kernarg_segment_size: 464
    .language:       OpenCL C
    .language_version:
      - 2
      - 0
    .max_flat_workgroup_size: 128
    .name:           _ZL18flash_attn_ext_vecILi64ELi2EL9ggml_type2ELS0_8ELb1EEvPKcS2_S2_S2_S2_PKiPfP15HIP_vector_typeIfLj2EEffffjfiS6_IjLj3EEiiiiiiiiiiiliiliiiiil
    .private_segment_fixed_size: 16
    .sgpr_count:     36
    .sgpr_spill_count: 0
    .symbol:         _ZL18flash_attn_ext_vecILi64ELi2EL9ggml_type2ELS0_8ELb1EEvPKcS2_S2_S2_S2_PKiPfP15HIP_vector_typeIfLj2EEffffjfiS6_IjLj3EEiiiiiiiiiiiliiliiiiil.kd
    .uniform_work_group_size: 1
    .uses_dynamic_stack: false
    .vgpr_count:     40
    .vgpr_spill_count: 0
    .wavefront_size: 32
    .workgroup_processor_mode: 1
  - .args:
      - .address_space:  global
        .offset:         0
        .size:           8
        .value_kind:     global_buffer
      - .address_space:  global
        .offset:         8
        .size:           8
        .value_kind:     global_buffer
      - .address_space:  global
        .offset:         16
        .size:           8
        .value_kind:     global_buffer
      - .address_space:  global
        .offset:         24
        .size:           8
        .value_kind:     global_buffer
      - .address_space:  global
        .offset:         32
        .size:           8
        .value_kind:     global_buffer
      - .address_space:  global
        .offset:         40
        .size:           8
        .value_kind:     global_buffer
      - .address_space:  global
        .offset:         48
        .size:           8
        .value_kind:     global_buffer
      - .address_space:  global
        .offset:         56
        .size:           8
        .value_kind:     global_buffer
      - .offset:         64
        .size:           4
        .value_kind:     by_value
      - .offset:         68
        .size:           4
        .value_kind:     by_value
      - .offset:         72
        .size:           4
        .value_kind:     by_value
      - .offset:         76
        .size:           4
        .value_kind:     by_value
      - .offset:         80
        .size:           4
        .value_kind:     by_value
      - .offset:         84
        .size:           4
        .value_kind:     by_value
      - .offset:         88
        .size:           4
        .value_kind:     by_value
      - .offset:         92
        .size:           12
        .value_kind:     by_value
      - .offset:         104
        .size:           4
        .value_kind:     by_value
      - .offset:         108
        .size:           4
        .value_kind:     by_value
      - .offset:         112
        .size:           4
        .value_kind:     by_value
      - .offset:         116
        .size:           4
        .value_kind:     by_value
      - .offset:         120
        .size:           4
        .value_kind:     by_value
      - .offset:         124
        .size:           4
        .value_kind:     by_value
      - .offset:         128
        .size:           4
        .value_kind:     by_value
      - .offset:         132
        .size:           4
        .value_kind:     by_value
      - .offset:         136
        .size:           4
        .value_kind:     by_value
      - .offset:         140
        .size:           4
        .value_kind:     by_value
      - .offset:         144
        .size:           4
        .value_kind:     by_value
      - .offset:         152
        .size:           8
        .value_kind:     by_value
      - .offset:         160
        .size:           4
        .value_kind:     by_value
      - .offset:         164
        .size:           4
        .value_kind:     by_value
      - .offset:         168
        .size:           8
        .value_kind:     by_value
      - .offset:         176
        .size:           4
        .value_kind:     by_value
      - .offset:         180
        .size:           4
        .value_kind:     by_value
      - .offset:         184
        .size:           4
        .value_kind:     by_value
      - .offset:         188
        .size:           4
        .value_kind:     by_value
      - .offset:         192
        .size:           4
        .value_kind:     by_value
      - .offset:         200
        .size:           8
        .value_kind:     by_value
      - .offset:         208
        .size:           4
        .value_kind:     hidden_block_count_x
      - .offset:         212
        .size:           4
        .value_kind:     hidden_block_count_y
      - .offset:         216
        .size:           4
        .value_kind:     hidden_block_count_z
      - .offset:         220
        .size:           2
        .value_kind:     hidden_group_size_x
      - .offset:         222
        .size:           2
        .value_kind:     hidden_group_size_y
      - .offset:         224
        .size:           2
        .value_kind:     hidden_group_size_z
      - .offset:         226
        .size:           2
        .value_kind:     hidden_remainder_x
      - .offset:         228
        .size:           2
        .value_kind:     hidden_remainder_y
      - .offset:         230
        .size:           2
        .value_kind:     hidden_remainder_z
      - .offset:         248
        .size:           8
        .value_kind:     hidden_global_offset_x
      - .offset:         256
        .size:           8
        .value_kind:     hidden_global_offset_y
      - .offset:         264
        .size:           8
        .value_kind:     hidden_global_offset_z
      - .offset:         272
        .size:           2
        .value_kind:     hidden_grid_dims
    .group_segment_fixed_size: 1280
    .kernarg_segment_align: 8
    .kernarg_segment_size: 464
    .language:       OpenCL C
    .language_version:
      - 2
      - 0
    .max_flat_workgroup_size: 128
    .name:           _ZL18flash_attn_ext_vecILi128ELi1EL9ggml_type2ELS0_8ELb0EEvPKcS2_S2_S2_S2_PKiPfP15HIP_vector_typeIfLj2EEffffjfiS6_IjLj3EEiiiiiiiiiiiliiliiiiil
    .private_segment_fixed_size: 0
    .sgpr_count:     52
    .sgpr_spill_count: 0
    .symbol:         _ZL18flash_attn_ext_vecILi128ELi1EL9ggml_type2ELS0_8ELb0EEvPKcS2_S2_S2_S2_PKiPfP15HIP_vector_typeIfLj2EEffffjfiS6_IjLj3EEiiiiiiiiiiiliiliiiiil.kd
    .uniform_work_group_size: 1
    .uses_dynamic_stack: false
    .vgpr_count:     220
    .vgpr_spill_count: 0
    .wavefront_size: 32
    .workgroup_processor_mode: 1
  - .args:
      - .address_space:  global
        .offset:         0
        .size:           8
        .value_kind:     global_buffer
      - .address_space:  global
        .offset:         8
        .size:           8
        .value_kind:     global_buffer
      - .offset:         16
        .size:           4
        .value_kind:     by_value
      - .offset:         20
        .size:           4
        .value_kind:     by_value
      - .offset:         24
        .size:           4
        .value_kind:     by_value
      - .offset:         28
        .size:           4
        .value_kind:     by_value
      - .offset:         32
        .size:           4
        .value_kind:     by_value
      - .offset:         36
        .size:           4
        .value_kind:     by_value
      - .offset:         40
        .size:           12
        .value_kind:     by_value
      - .offset:         52
        .size:           12
        .value_kind:     by_value
      - .offset:         64
        .size:           12
        .value_kind:     by_value
    .group_segment_fixed_size: 0
    .kernarg_segment_align: 8
    .kernarg_segment_size: 76
    .language:       OpenCL C
    .language_version:
      - 2
      - 0
    .max_flat_workgroup_size: 128
    .name:           _ZL33flash_attn_stream_k_fixup_uniformILi128ELi1ELi1EEvPfPK15HIP_vector_typeIfLj2EEiiiiiiS1_IjLj3EES5_S5_
    .private_segment_fixed_size: 0
    .sgpr_count:     22
    .sgpr_spill_count: 0
    .symbol:         _ZL33flash_attn_stream_k_fixup_uniformILi128ELi1ELi1EEvPfPK15HIP_vector_typeIfLj2EEiiiiiiS1_IjLj3EES5_S5_.kd
    .uniform_work_group_size: 1
    .uses_dynamic_stack: false
    .vgpr_count:     15
    .vgpr_spill_count: 0
    .wavefront_size: 32
    .workgroup_processor_mode: 1
  - .args:
      - .address_space:  global
        .offset:         0
        .size:           8
        .value_kind:     global_buffer
      - .address_space:  global
        .offset:         8
        .size:           8
        .value_kind:     global_buffer
      - .offset:         16
        .size:           4
        .value_kind:     by_value
      - .offset:         20
        .size:           4
        .value_kind:     by_value
      - .offset:         24
        .size:           4
        .value_kind:     by_value
      - .offset:         28
        .size:           4
        .value_kind:     by_value
      - .offset:         32
        .size:           12
        .value_kind:     by_value
      - .offset:         44
        .size:           12
        .value_kind:     by_value
      - .offset:         56
        .size:           12
        .value_kind:     by_value
      - .offset:         68
        .size:           12
        .value_kind:     by_value
      - .offset:         80
        .size:           4
        .value_kind:     hidden_block_count_x
      - .offset:         84
        .size:           4
        .value_kind:     hidden_block_count_y
      - .offset:         88
        .size:           4
        .value_kind:     hidden_block_count_z
      - .offset:         92
        .size:           2
        .value_kind:     hidden_group_size_x
      - .offset:         94
        .size:           2
        .value_kind:     hidden_group_size_y
      - .offset:         96
        .size:           2
        .value_kind:     hidden_group_size_z
      - .offset:         98
        .size:           2
        .value_kind:     hidden_remainder_x
      - .offset:         100
        .size:           2
        .value_kind:     hidden_remainder_y
      - .offset:         102
        .size:           2
        .value_kind:     hidden_remainder_z
      - .offset:         120
        .size:           8
        .value_kind:     hidden_global_offset_x
      - .offset:         128
        .size:           8
        .value_kind:     hidden_global_offset_y
      - .offset:         136
        .size:           8
        .value_kind:     hidden_global_offset_z
      - .offset:         144
        .size:           2
        .value_kind:     hidden_grid_dims
    .group_segment_fixed_size: 0
    .kernarg_segment_align: 8
    .kernarg_segment_size: 336
    .language:       OpenCL C
    .language_version:
      - 2
      - 0
    .max_flat_workgroup_size: 128
    .name:           _ZL33flash_attn_stream_k_fixup_generalILi128ELi1ELi1EEvPfPK15HIP_vector_typeIfLj2EEiiiiS1_IjLj3EES5_S5_S5_
    .private_segment_fixed_size: 0
    .sgpr_count:     33
    .sgpr_spill_count: 0
    .symbol:         _ZL33flash_attn_stream_k_fixup_generalILi128ELi1ELi1EEvPfPK15HIP_vector_typeIfLj2EEiiiiS1_IjLj3EES5_S5_S5_.kd
    .uniform_work_group_size: 1
    .uses_dynamic_stack: false
    .vgpr_count:     17
    .vgpr_spill_count: 0
    .wavefront_size: 32
    .workgroup_processor_mode: 1
  - .args:
      - .address_space:  global
        .offset:         0
        .size:           8
        .value_kind:     global_buffer
      - .address_space:  global
        .offset:         8
        .size:           8
        .value_kind:     global_buffer
      - .address_space:  global
        .offset:         16
        .size:           8
        .value_kind:     global_buffer
      - .offset:         24
        .size:           4
        .value_kind:     by_value
      - .offset:         32
        .size:           4
        .value_kind:     hidden_block_count_x
      - .offset:         36
        .size:           4
        .value_kind:     hidden_block_count_y
      - .offset:         40
        .size:           4
        .value_kind:     hidden_block_count_z
      - .offset:         44
        .size:           2
        .value_kind:     hidden_group_size_x
      - .offset:         46
        .size:           2
        .value_kind:     hidden_group_size_y
      - .offset:         48
        .size:           2
        .value_kind:     hidden_group_size_z
      - .offset:         50
        .size:           2
        .value_kind:     hidden_remainder_x
      - .offset:         52
        .size:           2
        .value_kind:     hidden_remainder_y
      - .offset:         54
        .size:           2
        .value_kind:     hidden_remainder_z
      - .offset:         72
        .size:           8
        .value_kind:     hidden_global_offset_x
      - .offset:         80
        .size:           8
        .value_kind:     hidden_global_offset_y
      - .offset:         88
        .size:           8
        .value_kind:     hidden_global_offset_z
      - .offset:         96
        .size:           2
        .value_kind:     hidden_grid_dims
      - .offset:         152
        .size:           4
        .value_kind:     hidden_dynamic_lds_size
    .group_segment_fixed_size: 0
    .kernarg_segment_align: 8
    .kernarg_segment_size: 288
    .language:       OpenCL C
    .language_version:
      - 2
      - 0
    .max_flat_workgroup_size: 128
    .name:           _ZL26flash_attn_combine_resultsILi128EEvPKfPK15HIP_vector_typeIfLj2EEPfi
    .private_segment_fixed_size: 0
    .sgpr_count:     20
    .sgpr_spill_count: 0
    .symbol:         _ZL26flash_attn_combine_resultsILi128EEvPKfPK15HIP_vector_typeIfLj2EEPfi.kd
    .uniform_work_group_size: 1
    .uses_dynamic_stack: false
    .vgpr_count:     52
    .vgpr_spill_count: 0
    .wavefront_size: 32
    .workgroup_processor_mode: 1
  - .args:
      - .address_space:  global
        .offset:         0
        .size:           8
        .value_kind:     global_buffer
      - .address_space:  global
        .offset:         8
        .size:           8
        .value_kind:     global_buffer
      - .address_space:  global
        .offset:         16
        .size:           8
        .value_kind:     global_buffer
      - .address_space:  global
        .offset:         24
        .size:           8
        .value_kind:     global_buffer
      - .address_space:  global
        .offset:         32
        .size:           8
        .value_kind:     global_buffer
      - .address_space:  global
        .offset:         40
        .size:           8
        .value_kind:     global_buffer
      - .address_space:  global
        .offset:         48
        .size:           8
        .value_kind:     global_buffer
      - .address_space:  global
        .offset:         56
        .size:           8
        .value_kind:     global_buffer
      - .offset:         64
        .size:           4
        .value_kind:     by_value
      - .offset:         68
        .size:           4
        .value_kind:     by_value
      - .offset:         72
        .size:           4
        .value_kind:     by_value
      - .offset:         76
        .size:           4
        .value_kind:     by_value
      - .offset:         80
        .size:           4
        .value_kind:     by_value
      - .offset:         84
        .size:           4
        .value_kind:     by_value
      - .offset:         88
        .size:           4
        .value_kind:     by_value
      - .offset:         92
        .size:           12
        .value_kind:     by_value
      - .offset:         104
        .size:           4
        .value_kind:     by_value
      - .offset:         108
        .size:           4
        .value_kind:     by_value
      - .offset:         112
        .size:           4
        .value_kind:     by_value
      - .offset:         116
        .size:           4
        .value_kind:     by_value
      - .offset:         120
        .size:           4
        .value_kind:     by_value
      - .offset:         124
        .size:           4
        .value_kind:     by_value
      - .offset:         128
        .size:           4
        .value_kind:     by_value
      - .offset:         132
        .size:           4
        .value_kind:     by_value
      - .offset:         136
        .size:           4
        .value_kind:     by_value
      - .offset:         140
        .size:           4
        .value_kind:     by_value
      - .offset:         144
        .size:           4
        .value_kind:     by_value
      - .offset:         152
        .size:           8
        .value_kind:     by_value
      - .offset:         160
        .size:           4
        .value_kind:     by_value
      - .offset:         164
        .size:           4
        .value_kind:     by_value
      - .offset:         168
        .size:           8
        .value_kind:     by_value
      - .offset:         176
        .size:           4
        .value_kind:     by_value
      - .offset:         180
        .size:           4
        .value_kind:     by_value
      - .offset:         184
        .size:           4
        .value_kind:     by_value
      - .offset:         188
        .size:           4
        .value_kind:     by_value
      - .offset:         192
        .size:           4
        .value_kind:     by_value
      - .offset:         200
        .size:           8
        .value_kind:     by_value
      - .offset:         208
        .size:           4
        .value_kind:     hidden_block_count_x
      - .offset:         212
        .size:           4
        .value_kind:     hidden_block_count_y
      - .offset:         216
        .size:           4
        .value_kind:     hidden_block_count_z
      - .offset:         220
        .size:           2
        .value_kind:     hidden_group_size_x
      - .offset:         222
        .size:           2
        .value_kind:     hidden_group_size_y
      - .offset:         224
        .size:           2
        .value_kind:     hidden_group_size_z
      - .offset:         226
        .size:           2
        .value_kind:     hidden_remainder_x
      - .offset:         228
        .size:           2
        .value_kind:     hidden_remainder_y
      - .offset:         230
        .size:           2
        .value_kind:     hidden_remainder_z
      - .offset:         248
        .size:           8
        .value_kind:     hidden_global_offset_x
      - .offset:         256
        .size:           8
        .value_kind:     hidden_global_offset_y
      - .offset:         264
        .size:           8
        .value_kind:     hidden_global_offset_z
      - .offset:         272
        .size:           2
        .value_kind:     hidden_grid_dims
    .group_segment_fixed_size: 1280
    .kernarg_segment_align: 8
    .kernarg_segment_size: 464
    .language:       OpenCL C
    .language_version:
      - 2
      - 0
    .max_flat_workgroup_size: 128
    .name:           _ZL18flash_attn_ext_vecILi128ELi1EL9ggml_type2ELS0_8ELb1EEvPKcS2_S2_S2_S2_PKiPfP15HIP_vector_typeIfLj2EEffffjfiS6_IjLj3EEiiiiiiiiiiiliiliiiiil
    .private_segment_fixed_size: 0
    .sgpr_count:     53
    .sgpr_spill_count: 0
    .symbol:         _ZL18flash_attn_ext_vecILi128ELi1EL9ggml_type2ELS0_8ELb1EEvPKcS2_S2_S2_S2_PKiPfP15HIP_vector_typeIfLj2EEffffjfiS6_IjLj3EEiiiiiiiiiiiliiliiiiil.kd
    .uniform_work_group_size: 1
    .uses_dynamic_stack: false
    .vgpr_count:     220
    .vgpr_spill_count: 0
    .wavefront_size: 32
    .workgroup_processor_mode: 1
  - .args:
      - .address_space:  global
        .offset:         0
        .size:           8
        .value_kind:     global_buffer
      - .address_space:  global
        .offset:         8
        .size:           8
        .value_kind:     global_buffer
      - .address_space:  global
        .offset:         16
        .size:           8
        .value_kind:     global_buffer
      - .address_space:  global
        .offset:         24
        .size:           8
        .value_kind:     global_buffer
      - .address_space:  global
        .offset:         32
        .size:           8
        .value_kind:     global_buffer
      - .address_space:  global
        .offset:         40
        .size:           8
        .value_kind:     global_buffer
      - .address_space:  global
        .offset:         48
        .size:           8
        .value_kind:     global_buffer
      - .address_space:  global
        .offset:         56
        .size:           8
        .value_kind:     global_buffer
      - .offset:         64
        .size:           4
        .value_kind:     by_value
      - .offset:         68
        .size:           4
        .value_kind:     by_value
      - .offset:         72
        .size:           4
        .value_kind:     by_value
      - .offset:         76
        .size:           4
        .value_kind:     by_value
      - .offset:         80
        .size:           4
        .value_kind:     by_value
      - .offset:         84
        .size:           4
        .value_kind:     by_value
      - .offset:         88
        .size:           4
        .value_kind:     by_value
      - .offset:         92
        .size:           12
        .value_kind:     by_value
      - .offset:         104
        .size:           4
        .value_kind:     by_value
      - .offset:         108
        .size:           4
        .value_kind:     by_value
      - .offset:         112
        .size:           4
        .value_kind:     by_value
      - .offset:         116
        .size:           4
        .value_kind:     by_value
      - .offset:         120
        .size:           4
        .value_kind:     by_value
      - .offset:         124
        .size:           4
        .value_kind:     by_value
      - .offset:         128
        .size:           4
        .value_kind:     by_value
      - .offset:         132
        .size:           4
        .value_kind:     by_value
      - .offset:         136
        .size:           4
        .value_kind:     by_value
      - .offset:         140
        .size:           4
        .value_kind:     by_value
      - .offset:         144
        .size:           4
        .value_kind:     by_value
      - .offset:         152
        .size:           8
        .value_kind:     by_value
      - .offset:         160
        .size:           4
        .value_kind:     by_value
      - .offset:         164
        .size:           4
        .value_kind:     by_value
      - .offset:         168
        .size:           8
        .value_kind:     by_value
      - .offset:         176
        .size:           4
        .value_kind:     by_value
      - .offset:         180
        .size:           4
        .value_kind:     by_value
      - .offset:         184
        .size:           4
        .value_kind:     by_value
      - .offset:         188
        .size:           4
        .value_kind:     by_value
      - .offset:         192
        .size:           4
        .value_kind:     by_value
      - .offset:         200
        .size:           8
        .value_kind:     by_value
      - .offset:         208
        .size:           4
        .value_kind:     hidden_block_count_x
      - .offset:         212
        .size:           4
        .value_kind:     hidden_block_count_y
      - .offset:         216
        .size:           4
        .value_kind:     hidden_block_count_z
      - .offset:         220
        .size:           2
        .value_kind:     hidden_group_size_x
      - .offset:         222
        .size:           2
        .value_kind:     hidden_group_size_y
      - .offset:         224
        .size:           2
        .value_kind:     hidden_group_size_z
      - .offset:         226
        .size:           2
        .value_kind:     hidden_remainder_x
      - .offset:         228
        .size:           2
        .value_kind:     hidden_remainder_y
      - .offset:         230
        .size:           2
        .value_kind:     hidden_remainder_z
      - .offset:         248
        .size:           8
        .value_kind:     hidden_global_offset_x
      - .offset:         256
        .size:           8
        .value_kind:     hidden_global_offset_y
      - .offset:         264
        .size:           8
        .value_kind:     hidden_global_offset_z
      - .offset:         272
        .size:           2
        .value_kind:     hidden_grid_dims
    .group_segment_fixed_size: 3584
    .kernarg_segment_align: 8
    .kernarg_segment_size: 464
    .language:       OpenCL C
    .language_version:
      - 2
      - 0
    .max_flat_workgroup_size: 128
    .name:           _ZL18flash_attn_ext_vecILi128ELi2EL9ggml_type2ELS0_8ELb0EEvPKcS2_S2_S2_S2_PKiPfP15HIP_vector_typeIfLj2EEffffjfiS6_IjLj3EEiiiiiiiiiiiliiliiiiil
    .private_segment_fixed_size: 0
    .sgpr_count:     52
    .sgpr_spill_count: 0
    .symbol:         _ZL18flash_attn_ext_vecILi128ELi2EL9ggml_type2ELS0_8ELb0EEvPKcS2_S2_S2_S2_PKiPfP15HIP_vector_typeIfLj2EEffffjfiS6_IjLj3EEiiiiiiiiiiiliiliiiiil.kd
    .uniform_work_group_size: 1
    .uses_dynamic_stack: false
    .vgpr_count:     252
    .vgpr_spill_count: 0
    .wavefront_size: 32
    .workgroup_processor_mode: 1
  - .args:
      - .address_space:  global
        .offset:         0
        .size:           8
        .value_kind:     global_buffer
      - .address_space:  global
        .offset:         8
        .size:           8
        .value_kind:     global_buffer
      - .offset:         16
        .size:           4
        .value_kind:     by_value
      - .offset:         20
        .size:           4
        .value_kind:     by_value
      - .offset:         24
        .size:           4
        .value_kind:     by_value
      - .offset:         28
        .size:           4
        .value_kind:     by_value
      - .offset:         32
        .size:           4
        .value_kind:     by_value
      - .offset:         36
        .size:           4
        .value_kind:     by_value
      - .offset:         40
        .size:           12
        .value_kind:     by_value
      - .offset:         52
        .size:           12
        .value_kind:     by_value
      - .offset:         64
        .size:           12
        .value_kind:     by_value
    .group_segment_fixed_size: 0
    .kernarg_segment_align: 8
    .kernarg_segment_size: 76
    .language:       OpenCL C
    .language_version:
      - 2
      - 0
    .max_flat_workgroup_size: 128
    .name:           _ZL33flash_attn_stream_k_fixup_uniformILi128ELi2ELi1EEvPfPK15HIP_vector_typeIfLj2EEiiiiiiS1_IjLj3EES5_S5_
    .private_segment_fixed_size: 0
    .sgpr_count:     26
    .sgpr_spill_count: 0
    .symbol:         _ZL33flash_attn_stream_k_fixup_uniformILi128ELi2ELi1EEvPfPK15HIP_vector_typeIfLj2EEiiiiiiS1_IjLj3EES5_S5_.kd
    .uniform_work_group_size: 1
    .uses_dynamic_stack: false
    .vgpr_count:     15
    .vgpr_spill_count: 0
    .wavefront_size: 32
    .workgroup_processor_mode: 1
  - .args:
      - .address_space:  global
        .offset:         0
        .size:           8
        .value_kind:     global_buffer
      - .address_space:  global
        .offset:         8
        .size:           8
        .value_kind:     global_buffer
      - .offset:         16
        .size:           4
        .value_kind:     by_value
      - .offset:         20
        .size:           4
        .value_kind:     by_value
      - .offset:         24
        .size:           4
        .value_kind:     by_value
      - .offset:         28
        .size:           4
        .value_kind:     by_value
      - .offset:         32
        .size:           12
        .value_kind:     by_value
      - .offset:         44
        .size:           12
        .value_kind:     by_value
      - .offset:         56
        .size:           12
        .value_kind:     by_value
      - .offset:         68
        .size:           12
        .value_kind:     by_value
      - .offset:         80
        .size:           4
        .value_kind:     hidden_block_count_x
      - .offset:         84
        .size:           4
        .value_kind:     hidden_block_count_y
      - .offset:         88
        .size:           4
        .value_kind:     hidden_block_count_z
      - .offset:         92
        .size:           2
        .value_kind:     hidden_group_size_x
      - .offset:         94
        .size:           2
        .value_kind:     hidden_group_size_y
      - .offset:         96
        .size:           2
        .value_kind:     hidden_group_size_z
      - .offset:         98
        .size:           2
        .value_kind:     hidden_remainder_x
      - .offset:         100
        .size:           2
        .value_kind:     hidden_remainder_y
      - .offset:         102
        .size:           2
        .value_kind:     hidden_remainder_z
      - .offset:         120
        .size:           8
        .value_kind:     hidden_global_offset_x
      - .offset:         128
        .size:           8
        .value_kind:     hidden_global_offset_y
      - .offset:         136
        .size:           8
        .value_kind:     hidden_global_offset_z
      - .offset:         144
        .size:           2
        .value_kind:     hidden_grid_dims
    .group_segment_fixed_size: 0
    .kernarg_segment_align: 8
    .kernarg_segment_size: 336
    .language:       OpenCL C
    .language_version:
      - 2
      - 0
    .max_flat_workgroup_size: 128
    .name:           _ZL33flash_attn_stream_k_fixup_generalILi128ELi2ELi1EEvPfPK15HIP_vector_typeIfLj2EEiiiiS1_IjLj3EES5_S5_S5_
    .private_segment_fixed_size: 0
    .sgpr_count:     33
    .sgpr_spill_count: 0
    .symbol:         _ZL33flash_attn_stream_k_fixup_generalILi128ELi2ELi1EEvPfPK15HIP_vector_typeIfLj2EEiiiiS1_IjLj3EES5_S5_S5_.kd
    .uniform_work_group_size: 1
    .uses_dynamic_stack: false
    .vgpr_count:     17
    .vgpr_spill_count: 0
    .wavefront_size: 32
    .workgroup_processor_mode: 1
  - .args:
      - .address_space:  global
        .offset:         0
        .size:           8
        .value_kind:     global_buffer
      - .address_space:  global
        .offset:         8
        .size:           8
        .value_kind:     global_buffer
      - .address_space:  global
        .offset:         16
        .size:           8
        .value_kind:     global_buffer
      - .address_space:  global
        .offset:         24
        .size:           8
        .value_kind:     global_buffer
      - .address_space:  global
        .offset:         32
        .size:           8
        .value_kind:     global_buffer
      - .address_space:  global
        .offset:         40
        .size:           8
        .value_kind:     global_buffer
      - .address_space:  global
        .offset:         48
        .size:           8
        .value_kind:     global_buffer
      - .address_space:  global
        .offset:         56
        .size:           8
        .value_kind:     global_buffer
      - .offset:         64
        .size:           4
        .value_kind:     by_value
      - .offset:         68
        .size:           4
        .value_kind:     by_value
      - .offset:         72
        .size:           4
        .value_kind:     by_value
      - .offset:         76
        .size:           4
        .value_kind:     by_value
      - .offset:         80
        .size:           4
        .value_kind:     by_value
      - .offset:         84
        .size:           4
        .value_kind:     by_value
      - .offset:         88
        .size:           4
        .value_kind:     by_value
      - .offset:         92
        .size:           12
        .value_kind:     by_value
      - .offset:         104
        .size:           4
        .value_kind:     by_value
      - .offset:         108
        .size:           4
        .value_kind:     by_value
      - .offset:         112
        .size:           4
        .value_kind:     by_value
      - .offset:         116
        .size:           4
        .value_kind:     by_value
      - .offset:         120
        .size:           4
        .value_kind:     by_value
      - .offset:         124
        .size:           4
        .value_kind:     by_value
      - .offset:         128
        .size:           4
        .value_kind:     by_value
      - .offset:         132
        .size:           4
        .value_kind:     by_value
      - .offset:         136
        .size:           4
        .value_kind:     by_value
      - .offset:         140
        .size:           4
        .value_kind:     by_value
      - .offset:         144
        .size:           4
        .value_kind:     by_value
      - .offset:         152
        .size:           8
        .value_kind:     by_value
      - .offset:         160
        .size:           4
        .value_kind:     by_value
      - .offset:         164
        .size:           4
        .value_kind:     by_value
      - .offset:         168
        .size:           8
        .value_kind:     by_value
      - .offset:         176
        .size:           4
        .value_kind:     by_value
      - .offset:         180
        .size:           4
        .value_kind:     by_value
      - .offset:         184
        .size:           4
        .value_kind:     by_value
      - .offset:         188
        .size:           4
        .value_kind:     by_value
      - .offset:         192
        .size:           4
        .value_kind:     by_value
      - .offset:         200
        .size:           8
        .value_kind:     by_value
      - .offset:         208
        .size:           4
        .value_kind:     hidden_block_count_x
      - .offset:         212
        .size:           4
        .value_kind:     hidden_block_count_y
      - .offset:         216
        .size:           4
        .value_kind:     hidden_block_count_z
      - .offset:         220
        .size:           2
        .value_kind:     hidden_group_size_x
      - .offset:         222
        .size:           2
        .value_kind:     hidden_group_size_y
      - .offset:         224
        .size:           2
        .value_kind:     hidden_group_size_z
      - .offset:         226
        .size:           2
        .value_kind:     hidden_remainder_x
      - .offset:         228
        .size:           2
        .value_kind:     hidden_remainder_y
      - .offset:         230
        .size:           2
        .value_kind:     hidden_remainder_z
      - .offset:         248
        .size:           8
        .value_kind:     hidden_global_offset_x
      - .offset:         256
        .size:           8
        .value_kind:     hidden_global_offset_y
      - .offset:         264
        .size:           8
        .value_kind:     hidden_global_offset_z
      - .offset:         272
        .size:           2
        .value_kind:     hidden_grid_dims
    .group_segment_fixed_size: 3584
    .kernarg_segment_align: 8
    .kernarg_segment_size: 464
    .language:       OpenCL C
    .language_version:
      - 2
      - 0
    .max_flat_workgroup_size: 128
    .name:           _ZL18flash_attn_ext_vecILi128ELi2EL9ggml_type2ELS0_8ELb1EEvPKcS2_S2_S2_S2_PKiPfP15HIP_vector_typeIfLj2EEffffjfiS6_IjLj3EEiiiiiiiiiiiliiliiiiil
    .private_segment_fixed_size: 0
    .sgpr_count:     54
    .sgpr_spill_count: 0
    .symbol:         _ZL18flash_attn_ext_vecILi128ELi2EL9ggml_type2ELS0_8ELb1EEvPKcS2_S2_S2_S2_PKiPfP15HIP_vector_typeIfLj2EEffffjfiS6_IjLj3EEiiiiiiiiiiiliiliiiiil.kd
    .uniform_work_group_size: 1
    .uses_dynamic_stack: false
    .vgpr_count:     252
    .vgpr_spill_count: 0
    .wavefront_size: 32
    .workgroup_processor_mode: 1
  - .args:
      - .address_space:  global
        .offset:         0
        .size:           8
        .value_kind:     global_buffer
      - .address_space:  global
        .offset:         8
        .size:           8
        .value_kind:     global_buffer
      - .address_space:  global
        .offset:         16
        .size:           8
        .value_kind:     global_buffer
      - .address_space:  global
        .offset:         24
        .size:           8
        .value_kind:     global_buffer
      - .address_space:  global
        .offset:         32
        .size:           8
        .value_kind:     global_buffer
      - .address_space:  global
        .offset:         40
        .size:           8
        .value_kind:     global_buffer
      - .address_space:  global
        .offset:         48
        .size:           8
        .value_kind:     global_buffer
      - .address_space:  global
        .offset:         56
        .size:           8
        .value_kind:     global_buffer
      - .offset:         64
        .size:           4
        .value_kind:     by_value
      - .offset:         68
        .size:           4
        .value_kind:     by_value
      - .offset:         72
        .size:           4
        .value_kind:     by_value
      - .offset:         76
        .size:           4
        .value_kind:     by_value
      - .offset:         80
        .size:           4
        .value_kind:     by_value
      - .offset:         84
        .size:           4
        .value_kind:     by_value
      - .offset:         88
        .size:           4
        .value_kind:     by_value
      - .offset:         92
        .size:           12
        .value_kind:     by_value
      - .offset:         104
        .size:           4
        .value_kind:     by_value
      - .offset:         108
        .size:           4
        .value_kind:     by_value
      - .offset:         112
        .size:           4
        .value_kind:     by_value
      - .offset:         116
        .size:           4
        .value_kind:     by_value
      - .offset:         120
        .size:           4
        .value_kind:     by_value
      - .offset:         124
        .size:           4
        .value_kind:     by_value
      - .offset:         128
        .size:           4
        .value_kind:     by_value
      - .offset:         132
        .size:           4
        .value_kind:     by_value
      - .offset:         136
        .size:           4
        .value_kind:     by_value
      - .offset:         140
        .size:           4
        .value_kind:     by_value
      - .offset:         144
        .size:           4
        .value_kind:     by_value
      - .offset:         152
        .size:           8
        .value_kind:     by_value
      - .offset:         160
        .size:           4
        .value_kind:     by_value
      - .offset:         164
        .size:           4
        .value_kind:     by_value
      - .offset:         168
        .size:           8
        .value_kind:     by_value
      - .offset:         176
        .size:           4
        .value_kind:     by_value
      - .offset:         180
        .size:           4
        .value_kind:     by_value
      - .offset:         184
        .size:           4
        .value_kind:     by_value
      - .offset:         188
        .size:           4
        .value_kind:     by_value
      - .offset:         192
        .size:           4
        .value_kind:     by_value
      - .offset:         200
        .size:           8
        .value_kind:     by_value
      - .offset:         208
        .size:           4
        .value_kind:     hidden_block_count_x
      - .offset:         212
        .size:           4
        .value_kind:     hidden_block_count_y
      - .offset:         216
        .size:           4
        .value_kind:     hidden_block_count_z
      - .offset:         220
        .size:           2
        .value_kind:     hidden_group_size_x
      - .offset:         222
        .size:           2
        .value_kind:     hidden_group_size_y
      - .offset:         224
        .size:           2
        .value_kind:     hidden_group_size_z
      - .offset:         226
        .size:           2
        .value_kind:     hidden_remainder_x
      - .offset:         228
        .size:           2
        .value_kind:     hidden_remainder_y
      - .offset:         230
        .size:           2
        .value_kind:     hidden_remainder_z
      - .offset:         248
        .size:           8
        .value_kind:     hidden_global_offset_x
      - .offset:         256
        .size:           8
        .value_kind:     hidden_global_offset_y
      - .offset:         264
        .size:           8
        .value_kind:     hidden_global_offset_z
      - .offset:         272
        .size:           2
        .value_kind:     hidden_grid_dims
    .group_segment_fixed_size: 2304
    .kernarg_segment_align: 8
    .kernarg_segment_size: 464
    .language:       OpenCL C
    .language_version:
      - 2
      - 0
    .max_flat_workgroup_size: 128
    .name:           _ZL18flash_attn_ext_vecILi256ELi1EL9ggml_type2ELS0_8ELb0EEvPKcS2_S2_S2_S2_PKiPfP15HIP_vector_typeIfLj2EEffffjfiS6_IjLj3EEiiiiiiiiiiiliiliiiiil
    .private_segment_fixed_size: 0
    .sgpr_count:     54
    .sgpr_spill_count: 0
    .symbol:         _ZL18flash_attn_ext_vecILi256ELi1EL9ggml_type2ELS0_8ELb0EEvPKcS2_S2_S2_S2_PKiPfP15HIP_vector_typeIfLj2EEffffjfiS6_IjLj3EEiiiiiiiiiiiliiliiiiil.kd
    .uniform_work_group_size: 1
    .uses_dynamic_stack: false
    .vgpr_count:     160
    .vgpr_spill_count: 0
    .wavefront_size: 32
    .workgroup_processor_mode: 1
  - .args:
      - .address_space:  global
        .offset:         0
        .size:           8
        .value_kind:     global_buffer
      - .address_space:  global
        .offset:         8
        .size:           8
        .value_kind:     global_buffer
      - .offset:         16
        .size:           4
        .value_kind:     by_value
      - .offset:         20
        .size:           4
        .value_kind:     by_value
      - .offset:         24
        .size:           4
        .value_kind:     by_value
      - .offset:         28
        .size:           4
        .value_kind:     by_value
      - .offset:         32
        .size:           4
        .value_kind:     by_value
      - .offset:         36
        .size:           4
        .value_kind:     by_value
      - .offset:         40
        .size:           12
        .value_kind:     by_value
      - .offset:         52
        .size:           12
        .value_kind:     by_value
      - .offset:         64
        .size:           12
        .value_kind:     by_value
    .group_segment_fixed_size: 0
    .kernarg_segment_align: 8
    .kernarg_segment_size: 76
    .language:       OpenCL C
    .language_version:
      - 2
      - 0
    .max_flat_workgroup_size: 256
    .name:           _ZL33flash_attn_stream_k_fixup_uniformILi256ELi1ELi1EEvPfPK15HIP_vector_typeIfLj2EEiiiiiiS1_IjLj3EES5_S5_
    .private_segment_fixed_size: 0
    .sgpr_count:     22
    .sgpr_spill_count: 0
    .symbol:         _ZL33flash_attn_stream_k_fixup_uniformILi256ELi1ELi1EEvPfPK15HIP_vector_typeIfLj2EEiiiiiiS1_IjLj3EES5_S5_.kd
    .uniform_work_group_size: 1
    .uses_dynamic_stack: false
    .vgpr_count:     15
    .vgpr_spill_count: 0
    .wavefront_size: 32
    .workgroup_processor_mode: 1
  - .args:
      - .address_space:  global
        .offset:         0
        .size:           8
        .value_kind:     global_buffer
      - .address_space:  global
        .offset:         8
        .size:           8
        .value_kind:     global_buffer
      - .offset:         16
        .size:           4
        .value_kind:     by_value
      - .offset:         20
        .size:           4
        .value_kind:     by_value
      - .offset:         24
        .size:           4
        .value_kind:     by_value
      - .offset:         28
        .size:           4
        .value_kind:     by_value
      - .offset:         32
        .size:           12
        .value_kind:     by_value
      - .offset:         44
        .size:           12
        .value_kind:     by_value
      - .offset:         56
        .size:           12
        .value_kind:     by_value
      - .offset:         68
        .size:           12
        .value_kind:     by_value
      - .offset:         80
        .size:           4
        .value_kind:     hidden_block_count_x
      - .offset:         84
        .size:           4
        .value_kind:     hidden_block_count_y
      - .offset:         88
        .size:           4
        .value_kind:     hidden_block_count_z
      - .offset:         92
        .size:           2
        .value_kind:     hidden_group_size_x
      - .offset:         94
        .size:           2
        .value_kind:     hidden_group_size_y
      - .offset:         96
        .size:           2
        .value_kind:     hidden_group_size_z
      - .offset:         98
        .size:           2
        .value_kind:     hidden_remainder_x
      - .offset:         100
        .size:           2
        .value_kind:     hidden_remainder_y
      - .offset:         102
        .size:           2
        .value_kind:     hidden_remainder_z
      - .offset:         120
        .size:           8
        .value_kind:     hidden_global_offset_x
      - .offset:         128
        .size:           8
        .value_kind:     hidden_global_offset_y
      - .offset:         136
        .size:           8
        .value_kind:     hidden_global_offset_z
      - .offset:         144
        .size:           2
        .value_kind:     hidden_grid_dims
    .group_segment_fixed_size: 0
    .kernarg_segment_align: 8
    .kernarg_segment_size: 336
    .language:       OpenCL C
    .language_version:
      - 2
      - 0
    .max_flat_workgroup_size: 256
    .name:           _ZL33flash_attn_stream_k_fixup_generalILi256ELi1ELi1EEvPfPK15HIP_vector_typeIfLj2EEiiiiS1_IjLj3EES5_S5_S5_
    .private_segment_fixed_size: 0
    .sgpr_count:     33
    .sgpr_spill_count: 0
    .symbol:         _ZL33flash_attn_stream_k_fixup_generalILi256ELi1ELi1EEvPfPK15HIP_vector_typeIfLj2EEiiiiS1_IjLj3EES5_S5_S5_.kd
    .uniform_work_group_size: 1
    .uses_dynamic_stack: false
    .vgpr_count:     17
    .vgpr_spill_count: 0
    .wavefront_size: 32
    .workgroup_processor_mode: 1
  - .args:
      - .address_space:  global
        .offset:         0
        .size:           8
        .value_kind:     global_buffer
      - .address_space:  global
        .offset:         8
        .size:           8
        .value_kind:     global_buffer
      - .address_space:  global
        .offset:         16
        .size:           8
        .value_kind:     global_buffer
      - .offset:         24
        .size:           4
        .value_kind:     by_value
      - .offset:         32
        .size:           4
        .value_kind:     hidden_block_count_x
      - .offset:         36
        .size:           4
        .value_kind:     hidden_block_count_y
      - .offset:         40
        .size:           4
        .value_kind:     hidden_block_count_z
      - .offset:         44
        .size:           2
        .value_kind:     hidden_group_size_x
      - .offset:         46
        .size:           2
        .value_kind:     hidden_group_size_y
      - .offset:         48
        .size:           2
        .value_kind:     hidden_group_size_z
      - .offset:         50
        .size:           2
        .value_kind:     hidden_remainder_x
      - .offset:         52
        .size:           2
        .value_kind:     hidden_remainder_y
      - .offset:         54
        .size:           2
        .value_kind:     hidden_remainder_z
      - .offset:         72
        .size:           8
        .value_kind:     hidden_global_offset_x
      - .offset:         80
        .size:           8
        .value_kind:     hidden_global_offset_y
      - .offset:         88
        .size:           8
        .value_kind:     hidden_global_offset_z
      - .offset:         96
        .size:           2
        .value_kind:     hidden_grid_dims
      - .offset:         152
        .size:           4
        .value_kind:     hidden_dynamic_lds_size
    .group_segment_fixed_size: 0
    .kernarg_segment_align: 8
    .kernarg_segment_size: 288
    .language:       OpenCL C
    .language_version:
      - 2
      - 0
    .max_flat_workgroup_size: 256
    .name:           _ZL26flash_attn_combine_resultsILi256EEvPKfPK15HIP_vector_typeIfLj2EEPfi
    .private_segment_fixed_size: 0
    .sgpr_count:     20
    .sgpr_spill_count: 0
    .symbol:         _ZL26flash_attn_combine_resultsILi256EEvPKfPK15HIP_vector_typeIfLj2EEPfi.kd
    .uniform_work_group_size: 1
    .uses_dynamic_stack: false
    .vgpr_count:     52
    .vgpr_spill_count: 0
    .wavefront_size: 32
    .workgroup_processor_mode: 1
  - .args:
      - .address_space:  global
        .offset:         0
        .size:           8
        .value_kind:     global_buffer
      - .address_space:  global
        .offset:         8
        .size:           8
        .value_kind:     global_buffer
      - .address_space:  global
        .offset:         16
        .size:           8
        .value_kind:     global_buffer
      - .address_space:  global
        .offset:         24
        .size:           8
        .value_kind:     global_buffer
      - .address_space:  global
        .offset:         32
        .size:           8
        .value_kind:     global_buffer
      - .address_space:  global
        .offset:         40
        .size:           8
        .value_kind:     global_buffer
      - .address_space:  global
        .offset:         48
        .size:           8
        .value_kind:     global_buffer
      - .address_space:  global
        .offset:         56
        .size:           8
        .value_kind:     global_buffer
      - .offset:         64
        .size:           4
        .value_kind:     by_value
      - .offset:         68
        .size:           4
        .value_kind:     by_value
      - .offset:         72
        .size:           4
        .value_kind:     by_value
      - .offset:         76
        .size:           4
        .value_kind:     by_value
      - .offset:         80
        .size:           4
        .value_kind:     by_value
      - .offset:         84
        .size:           4
        .value_kind:     by_value
      - .offset:         88
        .size:           4
        .value_kind:     by_value
      - .offset:         92
        .size:           12
        .value_kind:     by_value
      - .offset:         104
        .size:           4
        .value_kind:     by_value
      - .offset:         108
        .size:           4
        .value_kind:     by_value
      - .offset:         112
        .size:           4
        .value_kind:     by_value
      - .offset:         116
        .size:           4
        .value_kind:     by_value
      - .offset:         120
        .size:           4
        .value_kind:     by_value
      - .offset:         124
        .size:           4
        .value_kind:     by_value
      - .offset:         128
        .size:           4
        .value_kind:     by_value
      - .offset:         132
        .size:           4
        .value_kind:     by_value
      - .offset:         136
        .size:           4
        .value_kind:     by_value
      - .offset:         140
        .size:           4
        .value_kind:     by_value
      - .offset:         144
        .size:           4
        .value_kind:     by_value
      - .offset:         152
        .size:           8
        .value_kind:     by_value
      - .offset:         160
        .size:           4
        .value_kind:     by_value
      - .offset:         164
        .size:           4
        .value_kind:     by_value
      - .offset:         168
        .size:           8
        .value_kind:     by_value
      - .offset:         176
        .size:           4
        .value_kind:     by_value
      - .offset:         180
        .size:           4
        .value_kind:     by_value
      - .offset:         184
        .size:           4
        .value_kind:     by_value
      - .offset:         188
        .size:           4
        .value_kind:     by_value
      - .offset:         192
        .size:           4
        .value_kind:     by_value
      - .offset:         200
        .size:           8
        .value_kind:     by_value
      - .offset:         208
        .size:           4
        .value_kind:     hidden_block_count_x
      - .offset:         212
        .size:           4
        .value_kind:     hidden_block_count_y
      - .offset:         216
        .size:           4
        .value_kind:     hidden_block_count_z
      - .offset:         220
        .size:           2
        .value_kind:     hidden_group_size_x
      - .offset:         222
        .size:           2
        .value_kind:     hidden_group_size_y
      - .offset:         224
        .size:           2
        .value_kind:     hidden_group_size_z
      - .offset:         226
        .size:           2
        .value_kind:     hidden_remainder_x
      - .offset:         228
        .size:           2
        .value_kind:     hidden_remainder_y
      - .offset:         230
        .size:           2
        .value_kind:     hidden_remainder_z
      - .offset:         248
        .size:           8
        .value_kind:     hidden_global_offset_x
      - .offset:         256
        .size:           8
        .value_kind:     hidden_global_offset_y
      - .offset:         264
        .size:           8
        .value_kind:     hidden_global_offset_z
      - .offset:         272
        .size:           2
        .value_kind:     hidden_grid_dims
    .group_segment_fixed_size: 2304
    .kernarg_segment_align: 8
    .kernarg_segment_size: 464
    .language:       OpenCL C
    .language_version:
      - 2
      - 0
    .max_flat_workgroup_size: 128
    .name:           _ZL18flash_attn_ext_vecILi256ELi1EL9ggml_type2ELS0_8ELb1EEvPKcS2_S2_S2_S2_PKiPfP15HIP_vector_typeIfLj2EEffffjfiS6_IjLj3EEiiiiiiiiiiiliiliiiiil
    .private_segment_fixed_size: 0
    .sgpr_count:     58
    .sgpr_spill_count: 0
    .symbol:         _ZL18flash_attn_ext_vecILi256ELi1EL9ggml_type2ELS0_8ELb1EEvPKcS2_S2_S2_S2_PKiPfP15HIP_vector_typeIfLj2EEffffjfiS6_IjLj3EEiiiiiiiiiiiliiliiiiil.kd
    .uniform_work_group_size: 1
    .uses_dynamic_stack: false
    .vgpr_count:     160
    .vgpr_spill_count: 0
    .wavefront_size: 32
    .workgroup_processor_mode: 1
  - .args:
      - .address_space:  global
        .offset:         0
        .size:           8
        .value_kind:     global_buffer
      - .address_space:  global
        .offset:         8
        .size:           8
        .value_kind:     global_buffer
      - .address_space:  global
        .offset:         16
        .size:           8
        .value_kind:     global_buffer
      - .address_space:  global
        .offset:         24
        .size:           8
        .value_kind:     global_buffer
      - .address_space:  global
        .offset:         32
        .size:           8
        .value_kind:     global_buffer
      - .address_space:  global
        .offset:         40
        .size:           8
        .value_kind:     global_buffer
      - .address_space:  global
        .offset:         48
        .size:           8
        .value_kind:     global_buffer
      - .address_space:  global
        .offset:         56
        .size:           8
        .value_kind:     global_buffer
      - .offset:         64
        .size:           4
        .value_kind:     by_value
      - .offset:         68
        .size:           4
        .value_kind:     by_value
      - .offset:         72
        .size:           4
        .value_kind:     by_value
      - .offset:         76
        .size:           4
        .value_kind:     by_value
      - .offset:         80
        .size:           4
        .value_kind:     by_value
      - .offset:         84
        .size:           4
        .value_kind:     by_value
      - .offset:         88
        .size:           4
        .value_kind:     by_value
      - .offset:         92
        .size:           12
        .value_kind:     by_value
      - .offset:         104
        .size:           4
        .value_kind:     by_value
      - .offset:         108
        .size:           4
        .value_kind:     by_value
      - .offset:         112
        .size:           4
        .value_kind:     by_value
      - .offset:         116
        .size:           4
        .value_kind:     by_value
      - .offset:         120
        .size:           4
        .value_kind:     by_value
      - .offset:         124
        .size:           4
        .value_kind:     by_value
      - .offset:         128
        .size:           4
        .value_kind:     by_value
      - .offset:         132
        .size:           4
        .value_kind:     by_value
      - .offset:         136
        .size:           4
        .value_kind:     by_value
      - .offset:         140
        .size:           4
        .value_kind:     by_value
      - .offset:         144
        .size:           4
        .value_kind:     by_value
      - .offset:         152
        .size:           8
        .value_kind:     by_value
      - .offset:         160
        .size:           4
        .value_kind:     by_value
      - .offset:         164
        .size:           4
        .value_kind:     by_value
      - .offset:         168
        .size:           8
        .value_kind:     by_value
      - .offset:         176
        .size:           4
        .value_kind:     by_value
      - .offset:         180
        .size:           4
        .value_kind:     by_value
      - .offset:         184
        .size:           4
        .value_kind:     by_value
      - .offset:         188
        .size:           4
        .value_kind:     by_value
      - .offset:         192
        .size:           4
        .value_kind:     by_value
      - .offset:         200
        .size:           8
        .value_kind:     by_value
      - .offset:         208
        .size:           4
        .value_kind:     hidden_block_count_x
      - .offset:         212
        .size:           4
        .value_kind:     hidden_block_count_y
      - .offset:         216
        .size:           4
        .value_kind:     hidden_block_count_z
      - .offset:         220
        .size:           2
        .value_kind:     hidden_group_size_x
      - .offset:         222
        .size:           2
        .value_kind:     hidden_group_size_y
      - .offset:         224
        .size:           2
        .value_kind:     hidden_group_size_z
      - .offset:         226
        .size:           2
        .value_kind:     hidden_remainder_x
      - .offset:         228
        .size:           2
        .value_kind:     hidden_remainder_y
      - .offset:         230
        .size:           2
        .value_kind:     hidden_remainder_z
      - .offset:         248
        .size:           8
        .value_kind:     hidden_global_offset_x
      - .offset:         256
        .size:           8
        .value_kind:     hidden_global_offset_y
      - .offset:         264
        .size:           8
        .value_kind:     hidden_global_offset_z
      - .offset:         272
        .size:           2
        .value_kind:     hidden_grid_dims
    .group_segment_fixed_size: 6656
    .kernarg_segment_align: 8
    .kernarg_segment_size: 464
    .language:       OpenCL C
    .language_version:
      - 2
      - 0
    .max_flat_workgroup_size: 128
    .name:           _ZL18flash_attn_ext_vecILi256ELi2EL9ggml_type2ELS0_8ELb0EEvPKcS2_S2_S2_S2_PKiPfP15HIP_vector_typeIfLj2EEffffjfiS6_IjLj3EEiiiiiiiiiiiliiliiiiil
    .private_segment_fixed_size: 0
    .sgpr_count:     54
    .sgpr_spill_count: 0
    .symbol:         _ZL18flash_attn_ext_vecILi256ELi2EL9ggml_type2ELS0_8ELb0EEvPKcS2_S2_S2_S2_PKiPfP15HIP_vector_typeIfLj2EEffffjfiS6_IjLj3EEiiiiiiiiiiiliiliiiiil.kd
    .uniform_work_group_size: 1
    .uses_dynamic_stack: false
    .vgpr_count:     239
    .vgpr_spill_count: 0
    .wavefront_size: 32
    .workgroup_processor_mode: 1
  - .args:
      - .address_space:  global
        .offset:         0
        .size:           8
        .value_kind:     global_buffer
      - .address_space:  global
        .offset:         8
        .size:           8
        .value_kind:     global_buffer
      - .offset:         16
        .size:           4
        .value_kind:     by_value
      - .offset:         20
        .size:           4
        .value_kind:     by_value
      - .offset:         24
        .size:           4
        .value_kind:     by_value
      - .offset:         28
        .size:           4
        .value_kind:     by_value
      - .offset:         32
        .size:           4
        .value_kind:     by_value
      - .offset:         36
        .size:           4
        .value_kind:     by_value
      - .offset:         40
        .size:           12
        .value_kind:     by_value
      - .offset:         52
        .size:           12
        .value_kind:     by_value
      - .offset:         64
        .size:           12
        .value_kind:     by_value
    .group_segment_fixed_size: 0
    .kernarg_segment_align: 8
    .kernarg_segment_size: 76
    .language:       OpenCL C
    .language_version:
      - 2
      - 0
    .max_flat_workgroup_size: 256
    .name:           _ZL33flash_attn_stream_k_fixup_uniformILi256ELi2ELi1EEvPfPK15HIP_vector_typeIfLj2EEiiiiiiS1_IjLj3EES5_S5_
    .private_segment_fixed_size: 0
    .sgpr_count:     26
    .sgpr_spill_count: 0
    .symbol:         _ZL33flash_attn_stream_k_fixup_uniformILi256ELi2ELi1EEvPfPK15HIP_vector_typeIfLj2EEiiiiiiS1_IjLj3EES5_S5_.kd
    .uniform_work_group_size: 1
    .uses_dynamic_stack: false
    .vgpr_count:     15
    .vgpr_spill_count: 0
    .wavefront_size: 32
    .workgroup_processor_mode: 1
  - .args:
      - .address_space:  global
        .offset:         0
        .size:           8
        .value_kind:     global_buffer
      - .address_space:  global
        .offset:         8
        .size:           8
        .value_kind:     global_buffer
      - .offset:         16
        .size:           4
        .value_kind:     by_value
      - .offset:         20
        .size:           4
        .value_kind:     by_value
      - .offset:         24
        .size:           4
        .value_kind:     by_value
      - .offset:         28
        .size:           4
        .value_kind:     by_value
      - .offset:         32
        .size:           12
        .value_kind:     by_value
      - .offset:         44
        .size:           12
        .value_kind:     by_value
      - .offset:         56
        .size:           12
        .value_kind:     by_value
      - .offset:         68
        .size:           12
        .value_kind:     by_value
      - .offset:         80
        .size:           4
        .value_kind:     hidden_block_count_x
      - .offset:         84
        .size:           4
        .value_kind:     hidden_block_count_y
      - .offset:         88
        .size:           4
        .value_kind:     hidden_block_count_z
      - .offset:         92
        .size:           2
        .value_kind:     hidden_group_size_x
      - .offset:         94
        .size:           2
        .value_kind:     hidden_group_size_y
      - .offset:         96
        .size:           2
        .value_kind:     hidden_group_size_z
      - .offset:         98
        .size:           2
        .value_kind:     hidden_remainder_x
      - .offset:         100
        .size:           2
        .value_kind:     hidden_remainder_y
      - .offset:         102
        .size:           2
        .value_kind:     hidden_remainder_z
      - .offset:         120
        .size:           8
        .value_kind:     hidden_global_offset_x
      - .offset:         128
        .size:           8
        .value_kind:     hidden_global_offset_y
      - .offset:         136
        .size:           8
        .value_kind:     hidden_global_offset_z
      - .offset:         144
        .size:           2
        .value_kind:     hidden_grid_dims
    .group_segment_fixed_size: 0
    .kernarg_segment_align: 8
    .kernarg_segment_size: 336
    .language:       OpenCL C
    .language_version:
      - 2
      - 0
    .max_flat_workgroup_size: 256
    .name:           _ZL33flash_attn_stream_k_fixup_generalILi256ELi2ELi1EEvPfPK15HIP_vector_typeIfLj2EEiiiiS1_IjLj3EES5_S5_S5_
    .private_segment_fixed_size: 0
    .sgpr_count:     33
    .sgpr_spill_count: 0
    .symbol:         _ZL33flash_attn_stream_k_fixup_generalILi256ELi2ELi1EEvPfPK15HIP_vector_typeIfLj2EEiiiiS1_IjLj3EES5_S5_S5_.kd
    .uniform_work_group_size: 1
    .uses_dynamic_stack: false
    .vgpr_count:     17
    .vgpr_spill_count: 0
    .wavefront_size: 32
    .workgroup_processor_mode: 1
  - .args:
      - .address_space:  global
        .offset:         0
        .size:           8
        .value_kind:     global_buffer
      - .address_space:  global
        .offset:         8
        .size:           8
        .value_kind:     global_buffer
      - .address_space:  global
        .offset:         16
        .size:           8
        .value_kind:     global_buffer
      - .address_space:  global
        .offset:         24
        .size:           8
        .value_kind:     global_buffer
      - .address_space:  global
        .offset:         32
        .size:           8
        .value_kind:     global_buffer
      - .address_space:  global
        .offset:         40
        .size:           8
        .value_kind:     global_buffer
      - .address_space:  global
        .offset:         48
        .size:           8
        .value_kind:     global_buffer
      - .address_space:  global
        .offset:         56
        .size:           8
        .value_kind:     global_buffer
      - .offset:         64
        .size:           4
        .value_kind:     by_value
      - .offset:         68
        .size:           4
        .value_kind:     by_value
      - .offset:         72
        .size:           4
        .value_kind:     by_value
      - .offset:         76
        .size:           4
        .value_kind:     by_value
      - .offset:         80
        .size:           4
        .value_kind:     by_value
      - .offset:         84
        .size:           4
        .value_kind:     by_value
      - .offset:         88
        .size:           4
        .value_kind:     by_value
      - .offset:         92
        .size:           12
        .value_kind:     by_value
      - .offset:         104
        .size:           4
        .value_kind:     by_value
      - .offset:         108
        .size:           4
        .value_kind:     by_value
      - .offset:         112
        .size:           4
        .value_kind:     by_value
      - .offset:         116
        .size:           4
        .value_kind:     by_value
      - .offset:         120
        .size:           4
        .value_kind:     by_value
      - .offset:         124
        .size:           4
        .value_kind:     by_value
      - .offset:         128
        .size:           4
        .value_kind:     by_value
      - .offset:         132
        .size:           4
        .value_kind:     by_value
      - .offset:         136
        .size:           4
        .value_kind:     by_value
      - .offset:         140
        .size:           4
        .value_kind:     by_value
      - .offset:         144
        .size:           4
        .value_kind:     by_value
      - .offset:         152
        .size:           8
        .value_kind:     by_value
      - .offset:         160
        .size:           4
        .value_kind:     by_value
      - .offset:         164
        .size:           4
        .value_kind:     by_value
      - .offset:         168
        .size:           8
        .value_kind:     by_value
      - .offset:         176
        .size:           4
        .value_kind:     by_value
      - .offset:         180
        .size:           4
        .value_kind:     by_value
      - .offset:         184
        .size:           4
        .value_kind:     by_value
      - .offset:         188
        .size:           4
        .value_kind:     by_value
      - .offset:         192
        .size:           4
        .value_kind:     by_value
      - .offset:         200
        .size:           8
        .value_kind:     by_value
      - .offset:         208
        .size:           4
        .value_kind:     hidden_block_count_x
      - .offset:         212
        .size:           4
        .value_kind:     hidden_block_count_y
      - .offset:         216
        .size:           4
        .value_kind:     hidden_block_count_z
      - .offset:         220
        .size:           2
        .value_kind:     hidden_group_size_x
      - .offset:         222
        .size:           2
        .value_kind:     hidden_group_size_y
      - .offset:         224
        .size:           2
        .value_kind:     hidden_group_size_z
      - .offset:         226
        .size:           2
        .value_kind:     hidden_remainder_x
      - .offset:         228
        .size:           2
        .value_kind:     hidden_remainder_y
      - .offset:         230
        .size:           2
        .value_kind:     hidden_remainder_z
      - .offset:         248
        .size:           8
        .value_kind:     hidden_global_offset_x
      - .offset:         256
        .size:           8
        .value_kind:     hidden_global_offset_y
      - .offset:         264
        .size:           8
        .value_kind:     hidden_global_offset_z
      - .offset:         272
        .size:           2
        .value_kind:     hidden_grid_dims
    .group_segment_fixed_size: 6656
    .kernarg_segment_align: 8
    .kernarg_segment_size: 464
    .language:       OpenCL C
    .language_version:
      - 2
      - 0
    .max_flat_workgroup_size: 128
    .name:           _ZL18flash_attn_ext_vecILi256ELi2EL9ggml_type2ELS0_8ELb1EEvPKcS2_S2_S2_S2_PKiPfP15HIP_vector_typeIfLj2EEffffjfiS6_IjLj3EEiiiiiiiiiiiliiliiiiil
    .private_segment_fixed_size: 0
    .sgpr_count:     58
    .sgpr_spill_count: 0
    .symbol:         _ZL18flash_attn_ext_vecILi256ELi2EL9ggml_type2ELS0_8ELb1EEvPKcS2_S2_S2_S2_PKiPfP15HIP_vector_typeIfLj2EEffffjfiS6_IjLj3EEiiiiiiiiiiiliiliiiiil.kd
    .uniform_work_group_size: 1
    .uses_dynamic_stack: false
    .vgpr_count:     242
    .vgpr_spill_count: 0
    .wavefront_size: 32
    .workgroup_processor_mode: 1
amdhsa.target:   amdgcn-amd-amdhsa--gfx1030
amdhsa.version:
  - 1
  - 2
...

	.end_amdgpu_metadata
